;; amdgpu-corpus repo=vllm-project/vllm kind=compiled arch=gfx1030 opt=O3
	.amdgcn_target "amdgcn-amd-amdhsa--gfx1030"
	.amdhsa_code_object_version 6
	.text
	.protected	_ZN4vllm4gptq31reconstruct_exllama_8bit_kernelEPKjPKiS2_PK6__halfiiibPS5_ ; -- Begin function _ZN4vllm4gptq31reconstruct_exllama_8bit_kernelEPKjPKiS2_PK6__halfiiibPS5_
	.globl	_ZN4vllm4gptq31reconstruct_exllama_8bit_kernelEPKjPKiS2_PK6__halfiiibPS5_
	.p2align	8
	.type	_ZN4vllm4gptq31reconstruct_exllama_8bit_kernelEPKjPKiS2_PK6__halfiiibPS5_,@function
_ZN4vllm4gptq31reconstruct_exllama_8bit_kernelEPKjPKiS2_PK6__halfiiibPS5_: ; @_ZN4vllm4gptq31reconstruct_exllama_8bit_kernelEPKjPKiS2_PK6__halfiiibPS5_
; %bb.0:
	s_clause 0x1
	s_load_dwordx2 s[8:9], s[4:5], 0x8
	s_load_dwordx4 s[0:3], s[4:5], 0x20
	s_lshl_b32 s14, s7, 7
	s_waitcnt lgkmcnt(0)
	s_cmp_lg_u64 s[8:9], 0
	s_cselect_b32 s15, -1, 0
	s_cmp_eq_u64 s[8:9], 0
	s_cbranch_scc1 .LBB0_4
; %bb.1:
	v_add_nc_u32_e32 v1, s14, v0
	s_mov_b32 s10, exec_lo
	v_cmpx_gt_u32_e64 s0, v1
	s_cbranch_execz .LBB0_3
; %bb.2:
	v_mov_b32_e32 v2, 0
	v_lshlrev_b64 v[1:2], 2, v[1:2]
	v_add_co_u32 v1, vcc_lo, s8, v1
	v_add_co_ci_u32_e64 v2, null, s9, v2, vcc_lo
	global_load_dword v1, v[1:2], off
	v_lshlrev_b32_e32 v2, 2, v0
	s_waitcnt vmcnt(0)
	ds_write_b32 v2, v1
.LBB0_3:
	s_or_b32 exec_lo, exec_lo, s10
.LBB0_4:
	v_lshlrev_b32_e32 v13, 2, v0
	s_lshl_b32 s46, s6, 9
	s_mov_b32 s6, exec_lo
	v_add_nc_u32_e32 v4, s46, v13
	v_cmpx_gt_i32_e64 s1, v4
	s_cbranch_execz .LBB0_26
; %bb.5:
	s_abs_i32 s6, s2
	s_add_i32 s8, s14, 0x80
	v_cvt_f32_u32_e32 v0, s6
	v_cvt_f64_i32_e32 v[2:3], s0
	s_sub_i32 s9, 0, s6
	s_abs_i32 s10, s0
	s_xor_b32 s0, s0, s2
	v_rcp_iflag_f32_e32 v5, v0
	v_cvt_f64_u32_e32 v[0:1], s8
	s_ashr_i32 s0, s0, 31
	s_mov_b32 s16, 0
	s_waitcnt lgkmcnt(0)
	s_barrier
	buffer_gl0_inv
	v_mul_f32_e32 v5, 0x4f7ffffe, v5
	v_cvt_u32_f32_e32 v5, v5
	v_readfirstlane_b32 s8, v5
	v_min_f64 v[0:1], v[0:1], v[2:3]
	s_mul_i32 s9, s9, s8
	s_mul_hi_u32 s9, s8, s9
	s_add_i32 s8, s8, s9
	s_mul_hi_u32 s8, s10, s8
	s_mul_i32 s2, s8, s6
	s_add_i32 s9, s8, 1
	s_sub_i32 s2, s10, s2
	s_sub_i32 s10, s2, s6
	s_cmp_ge_u32 s2, s6
	s_cselect_b32 s8, s9, s8
	s_cselect_b32 s2, s10, s2
	s_add_i32 s9, s8, 1
	s_cmp_ge_u32 s2, s6
	v_cvt_i32_f64_e32 v14, v[0:1]
	s_cselect_b32 s2, s9, s8
	s_xor_b32 s2, s2, s0
	s_sub_i32 s0, s2, s0
	v_cvt_f32_u32_e32 v0, s0
	v_rcp_iflag_f32_e32 v0, v0
	v_mul_f32_e32 v0, 0x4f7ffffe, v0
	v_cmp_ge_i32_e32 vcc_lo, s14, v14
	v_cvt_u32_f32_e32 v0, v0
	v_readfirstlane_b32 s2, v0
	s_cbranch_vccnz .LBB0_26
; %bb.6:
	s_sub_i32 s6, 0, s0
	v_ashrrev_i32_e32 v15, 2, v4
	s_mul_i32 s6, s6, s2
	v_ashrrev_i32_e32 v5, 31, v4
	s_mul_hi_u32 s6, s2, s6
	v_mov_b32_e32 v16, 0x10001
	s_add_i32 s2, s2, s6
	s_mul_i32 s19, s7, s1
	s_mul_hi_u32 s2, s14, s2
	s_mul_i32 s6, s2, s0
	s_add_i32 s8, s2, 1
	s_sub_i32 s6, s14, s6
	s_sub_i32 s9, s6, s0
	s_cmp_ge_u32 s6, s0
	s_cselect_b32 s2, s8, s2
	s_cselect_b32 s6, s9, s6
	s_add_i32 s8, s2, 1
	s_cmp_ge_u32 s6, s0
	s_cselect_b32 s17, s8, s2
	s_load_dwordx4 s[8:11], s[4:5], 0x10
	s_mul_i32 s2, s17, s1
	s_ashr_i32 s6, s2, 31
	v_add_nc_u32_e32 v0, s2, v4
	s_lshr_b32 s6, s6, 30
	s_add_i32 s2, s2, s6
	s_mov_b32 s6, s1
	s_ashr_i32 s2, s2, 2
	v_ashrrev_i32_e32 v1, 31, v0
	v_add_nc_u32_e32 v2, s2, v15
	s_bitcmp1_b32 s3, 0
	s_cselect_b32 s18, -1, 0
	v_lshlrev_b64 v[0:1], 1, v[0:1]
	v_ashrrev_i32_e32 v3, 31, v2
	s_lshr_b32 s2, s14, 2
	s_xor_b32 s7, s18, -1
	s_mul_i32 s2, s1, s2
	v_cndmask_b32_e64 v17, 0, 1, s7
	v_lshlrev_b64 v[2:3], 2, v[2:3]
	s_waitcnt lgkmcnt(0)
	v_add_co_u32 v0, vcc_lo, s10, v0
	v_add_co_ci_u32_e64 v1, null, s11, v1, vcc_lo
	s_ashr_i32 s3, s2, 31
	v_add_co_u32 v2, vcc_lo, s8, v2
	v_add_co_ci_u32_e64 v3, null, s9, v3, vcc_lo
	s_lshl_b64 s[2:3], s[2:3], 2
	global_load_dwordx2 v[0:1], v[0:1], off
	global_load_dword v7, v[2:3], off
	s_clause 0x1
	s_load_dwordx2 s[12:13], s[4:5], 0x0
	s_load_dwordx2 s[4:5], s[4:5], 0x30
	v_lshlrev_b64 v[2:3], 2, v[4:5]
	s_waitcnt lgkmcnt(0)
	s_add_u32 s2, s12, s2
	s_addc_u32 s3, s13, s3
	v_add_co_u32 v5, vcc_lo, s2, v2
	s_add_i32 s18, s14, 30
	s_add_i32 s20, s14, 28
	s_add_i32 s21, s14, 29
	s_add_i32 s22, s14, 26
	s_add_i32 s23, s14, 27
	s_add_i32 s24, s14, 25
	s_add_i32 s25, s14, 24
	s_add_i32 s26, s14, 22
	s_add_i32 s27, s14, 20
	s_add_i32 s28, s14, 21
	s_add_i32 s29, s14, 18
	s_add_i32 s30, s14, 19
	s_add_i32 s31, s14, 17
	s_add_i32 s33, s14, 16
	s_add_i32 s34, s14, 14
	s_add_i32 s35, s14, 12
	s_add_i32 s36, s14, 13
	s_add_i32 s37, s14, 10
	s_add_i32 s38, s14, 11
	s_add_i32 s39, s14, 9
	s_add_i32 s40, s14, 8
	s_add_i32 s41, s14, 6
	s_add_i32 s42, s14, 4
	s_add_i32 s43, s14, 5
	s_add_i32 s44, s14, 2
	s_add_i32 s45, s14, 3
	s_add_i32 s48, s14, 1
	v_add_co_ci_u32_e64 v6, null, s3, v3, vcc_lo
	s_ashr_i32 s7, s1, 31
	s_lshl_b32 s47, s19, 7
	s_mul_i32 s18, s1, s18
	s_mul_i32 s19, s1, s20
	;; [unrolled: 1-line block ×27, first 2 shown]
	s_add_i32 s12, s0, s14
	s_lshl_b32 s13, s1, 5
	s_lshl_b64 s[2:3], s[6:7], 5
	s_add_i32 s18, s18, s46
	s_add_i32 s19, s19, s46
	s_add_i32 s20, s20, s46
	s_add_i32 s21, s21, s46
	s_add_i32 s22, s22, s46
	s_add_i32 s23, s23, s46
	s_add_i32 s24, s24, s46
	s_add_i32 s25, s25, s46
	s_add_i32 s26, s26, s46
	s_add_i32 s27, s27, s46
	s_add_i32 s28, s28, s46
	s_add_i32 s29, s29, s46
	s_add_i32 s30, s30, s46
	s_add_i32 s31, s31, s46
	s_add_i32 s33, s33, s46
	s_add_i32 s34, s34, s46
	s_add_i32 s35, s35, s46
	s_add_i32 s36, s36, s46
	s_add_i32 s37, s37, s46
	s_add_i32 s38, s38, s46
	s_add_i32 s39, s39, s46
	s_add_i32 s40, s40, s46
	s_add_i32 s41, s41, s46
	s_add_i32 s42, s42, s46
	s_add_i32 s43, s43, s46
	s_add_i32 s44, s44, s46
	s_add_i32 s45, s47, s46
	s_add_i32 s46, s48, s46
	s_lshl_b64 s[6:7], s[6:7], 2
	s_waitcnt vmcnt(1)
	v_mul_u32_u24_sdwa v21, v1, v16 dst_sel:DWORD dst_unused:UNUSED_PAD src0_sel:WORD_1 src1_sel:DWORD
	v_mul_u32_u24_sdwa v18, v1, v16 dst_sel:DWORD dst_unused:UNUSED_PAD src0_sel:WORD_0 src1_sel:DWORD
	v_mul_u32_u24_sdwa v19, v0, v16 dst_sel:DWORD dst_unused:UNUSED_PAD src0_sel:WORD_1 src1_sel:DWORD
	v_mul_u32_u24_sdwa v20, v0, v16 dst_sel:DWORD dst_unused:UNUSED_PAD src0_sel:WORD_0 src1_sel:DWORD
	s_waitcnt vmcnt(0)
	v_and_b32_e32 v22, 0xff, v7
	v_bfe_u32 v23, v7, 8, 8
	v_bfe_u32 v24, v7, 16, 8
	v_lshrrev_b32_e32 v25, 24, v7
	s_branch .LBB0_8
.LBB0_7:                                ;   in Loop: Header=BB0_8 Depth=1
	v_mad_u64_u32 v[7:8], null, v3, s1, v[4:5]
	v_lshrrev_b32_e32 v9, 16, v2
	v_add_co_u32 v5, vcc_lo, v5, s2
	v_lshrrev_b32_e32 v10, 16, v41
	s_add_i32 s14, s14, 32
	v_add_co_ci_u32_e64 v6, null, s3, v6, vcc_lo
	v_ashrrev_i32_e32 v8, 31, v7
	v_and_or_b32 v0, 0xffff0000, v0, v9
	v_and_or_b32 v1, 0xffff0000, v1, v10
	s_addk_i32 s16, 0x80
	s_add_i32 s18, s18, s13
	v_lshlrev_b64 v[2:3], 1, v[7:8]
	s_add_i32 s19, s19, s13
	s_add_i32 s20, s20, s13
	;; [unrolled: 1-line block ×5, first 2 shown]
	v_add_co_u32 v2, vcc_lo, s4, v2
	v_add_co_ci_u32_e64 v3, null, s5, v3, vcc_lo
	v_cmp_lt_i32_e32 vcc_lo, s14, v14
	s_add_i32 s24, s24, s13
	s_add_i32 s25, s25, s13
	;; [unrolled: 1-line block ×22, first 2 shown]
	global_store_dwordx2 v[2:3], v[0:1], off
	s_cbranch_vccz .LBB0_26
.LBB0_8:                                ; =>This Inner Loop Header: Depth=1
	s_cmp_lg_u32 s14, s12
	s_cbranch_scc1 .LBB0_10
; %bb.9:                                ;   in Loop: Header=BB0_8 Depth=1
	s_add_i32 s17, s17, 1
	s_add_i32 s12, s12, s0
	s_mul_i32 s47, s17, s1
	s_ashr_i32 s48, s47, 31
	v_add_nc_u32_e32 v0, s47, v4
	s_lshr_b32 s48, s48, 30
	s_add_i32 s47, s47, s48
	v_ashrrev_i32_e32 v1, 31, v0
	s_ashr_i32 s47, s47, 2
	v_add_nc_u32_e32 v2, s47, v15
	v_lshlrev_b64 v[0:1], 1, v[0:1]
	v_ashrrev_i32_e32 v3, 31, v2
	v_add_co_u32 v0, vcc_lo, s10, v0
	v_lshlrev_b64 v[2:3], 2, v[2:3]
	v_add_co_ci_u32_e64 v1, null, s11, v1, vcc_lo
	v_add_co_u32 v2, vcc_lo, s8, v2
	v_add_co_ci_u32_e64 v3, null, s9, v3, vcc_lo
	global_load_dwordx2 v[0:1], v[0:1], off
	global_load_dword v2, v[2:3], off
	s_waitcnt vmcnt(1)
	v_mul_u32_u24_sdwa v20, v0, v16 dst_sel:DWORD dst_unused:UNUSED_PAD src0_sel:WORD_0 src1_sel:DWORD
	v_mul_u32_u24_sdwa v19, v0, v16 dst_sel:DWORD dst_unused:UNUSED_PAD src0_sel:WORD_1 src1_sel:DWORD
	v_mul_u32_u24_sdwa v18, v1, v16 dst_sel:DWORD dst_unused:UNUSED_PAD src0_sel:WORD_0 src1_sel:DWORD
	s_waitcnt vmcnt(0)
	v_and_b32_e32 v22, 0xff, v2
	v_bfe_u32 v23, v2, 8, 8
	v_bfe_u32 v24, v2, 16, 8
	v_lshrrev_b32_e32 v25, 24, v2
	v_mul_u32_u24_sdwa v21, v1, v16 dst_sel:DWORD dst_unused:UNUSED_PAD src0_sel:WORD_1 src1_sel:DWORD
.LBB0_10:                               ;   in Loop: Header=BB0_8 Depth=1
	v_add_co_u32 v7, vcc_lo, v5, s6
	global_load_dwordx4 v[0:3], v[5:6], off
	v_add_co_ci_u32_e64 v8, null, s7, v6, vcc_lo
	v_add_nc_u32_e32 v29, v22, v17
	v_add_nc_u32_e32 v28, v23, v17
	v_add_nc_u32_e32 v27, v24, v17
	global_load_dwordx4 v[9:12], v[7:8], off
	v_add_nc_u32_e32 v26, v25, v17
	s_andn2_b32 vcc_lo, exec_lo, s15
	s_waitcnt vmcnt(1)
	v_sub_nc_u32_sdwa v30, v0, v29 dst_sel:DWORD dst_unused:UNUSED_PAD src0_sel:BYTE_0 src1_sel:DWORD
	v_sub_nc_u32_sdwa v31, v0, v29 dst_sel:DWORD dst_unused:UNUSED_PAD src0_sel:BYTE_1 src1_sel:DWORD
	v_sub_nc_u32_sdwa v33, v1, v28 dst_sel:DWORD dst_unused:UNUSED_PAD src0_sel:BYTE_0 src1_sel:DWORD
	v_sub_nc_u32_sdwa v34, v1, v28 dst_sel:DWORD dst_unused:UNUSED_PAD src0_sel:BYTE_1 src1_sel:DWORD
	v_sub_nc_u32_sdwa v35, v1, v28 dst_sel:DWORD dst_unused:UNUSED_PAD src0_sel:BYTE_2 src1_sel:DWORD
	v_sub_nc_u32_sdwa v1, v1, v28 dst_sel:DWORD dst_unused:UNUSED_PAD src0_sel:BYTE_3 src1_sel:DWORD
	v_sub_nc_u32_sdwa v36, v2, v27 dst_sel:DWORD dst_unused:UNUSED_PAD src0_sel:BYTE_0 src1_sel:DWORD
	v_sub_nc_u32_sdwa v37, v2, v27 dst_sel:DWORD dst_unused:UNUSED_PAD src0_sel:BYTE_1 src1_sel:DWORD
	v_sub_nc_u32_sdwa v32, v0, v29 dst_sel:DWORD dst_unused:UNUSED_PAD src0_sel:BYTE_2 src1_sel:DWORD
	v_sub_nc_u32_sdwa v0, v0, v29 dst_sel:DWORD dst_unused:UNUSED_PAD src0_sel:BYTE_3 src1_sel:DWORD
	v_sub_nc_u32_sdwa v38, v2, v27 dst_sel:DWORD dst_unused:UNUSED_PAD src0_sel:BYTE_2 src1_sel:DWORD
	v_sub_nc_u32_sdwa v2, v2, v27 dst_sel:DWORD dst_unused:UNUSED_PAD src0_sel:BYTE_3 src1_sel:DWORD
	v_sub_nc_u32_sdwa v39, v3, v26 dst_sel:DWORD dst_unused:UNUSED_PAD src0_sel:BYTE_0 src1_sel:DWORD
	v_sub_nc_u32_sdwa v40, v3, v26 dst_sel:DWORD dst_unused:UNUSED_PAD src0_sel:BYTE_1 src1_sel:DWORD
	v_sub_nc_u32_sdwa v41, v3, v26 dst_sel:DWORD dst_unused:UNUSED_PAD src0_sel:BYTE_2 src1_sel:DWORD
	v_sub_nc_u32_sdwa v3, v3, v26 dst_sel:DWORD dst_unused:UNUSED_PAD src0_sel:BYTE_3 src1_sel:DWORD
	v_cvt_f32_i32_e32 v30, v30
	v_cvt_f32_i32_e32 v31, v31
	s_waitcnt vmcnt(0)
	v_sub_nc_u32_sdwa v42, v9, v29 dst_sel:DWORD dst_unused:UNUSED_PAD src0_sel:BYTE_0 src1_sel:DWORD
	v_sub_nc_u32_sdwa v43, v9, v29 dst_sel:DWORD dst_unused:UNUSED_PAD src0_sel:BYTE_1 src1_sel:DWORD
	v_cvt_f32_i32_e32 v33, v33
	v_cvt_f32_i32_e32 v34, v34
	;; [unrolled: 1-line block ×4, first 2 shown]
	v_sub_nc_u32_sdwa v45, v10, v28 dst_sel:DWORD dst_unused:UNUSED_PAD src0_sel:BYTE_0 src1_sel:DWORD
	v_sub_nc_u32_sdwa v46, v10, v28 dst_sel:DWORD dst_unused:UNUSED_PAD src0_sel:BYTE_1 src1_sel:DWORD
	v_sub_nc_u32_sdwa v47, v10, v28 dst_sel:DWORD dst_unused:UNUSED_PAD src0_sel:BYTE_2 src1_sel:DWORD
	v_sub_nc_u32_sdwa v10, v10, v28 dst_sel:DWORD dst_unused:UNUSED_PAD src0_sel:BYTE_3 src1_sel:DWORD
	v_cvt_f32_i32_e32 v36, v36
	v_cvt_f32_i32_e32 v37, v37
	v_sub_nc_u32_sdwa v48, v11, v27 dst_sel:DWORD dst_unused:UNUSED_PAD src0_sel:BYTE_0 src1_sel:DWORD
	v_sub_nc_u32_sdwa v49, v11, v27 dst_sel:DWORD dst_unused:UNUSED_PAD src0_sel:BYTE_1 src1_sel:DWORD
	v_sub_nc_u32_sdwa v51, v12, v26 dst_sel:DWORD dst_unused:UNUSED_PAD src0_sel:BYTE_0 src1_sel:DWORD
	v_sub_nc_u32_sdwa v52, v12, v26 dst_sel:DWORD dst_unused:UNUSED_PAD src0_sel:BYTE_1 src1_sel:DWORD
	v_sub_nc_u32_sdwa v53, v12, v26 dst_sel:DWORD dst_unused:UNUSED_PAD src0_sel:BYTE_2 src1_sel:DWORD
	v_sub_nc_u32_sdwa v12, v12, v26 dst_sel:DWORD dst_unused:UNUSED_PAD src0_sel:BYTE_3 src1_sel:DWORD
	v_cvt_f32_i32_e32 v32, v32
	v_cvt_f32_i32_e32 v0, v0
	v_sub_nc_u32_sdwa v44, v9, v29 dst_sel:DWORD dst_unused:UNUSED_PAD src0_sel:BYTE_2 src1_sel:DWORD
	v_sub_nc_u32_sdwa v9, v9, v29 dst_sel:DWORD dst_unused:UNUSED_PAD src0_sel:BYTE_3 src1_sel:DWORD
	v_cvt_f32_i32_e32 v38, v38
	v_cvt_f32_i32_e32 v2, v2
	;; [unrolled: 4-line block ×3, first 2 shown]
	v_cvt_f32_i32_e32 v41, v41
	v_cvt_f32_i32_e32 v3, v3
	v_cvt_f16_f32_e32 v30, v30
	v_cvt_f16_f32_e32 v31, v31
	v_cvt_f32_i32_e32 v42, v42
	v_cvt_f32_i32_e32 v43, v43
	v_cvt_f16_f32_e32 v33, v33
	v_cvt_f16_f32_e32 v34, v34
	;; [unrolled: 1-line block ×4, first 2 shown]
	v_cvt_f32_i32_e32 v45, v45
	v_cvt_f32_i32_e32 v47, v47
	;; [unrolled: 1-line block ×3, first 2 shown]
	v_cvt_f16_f32_e32 v36, v36
	v_cvt_f16_f32_e32 v37, v37
	v_cvt_f32_i32_e32 v48, v48
	v_cvt_f32_i32_e32 v49, v49
	;; [unrolled: 1-line block ×4, first 2 shown]
	v_cvt_f16_f32_e32 v32, v32
	v_cvt_f16_f32_e32 v0, v0
	v_cvt_f32_i32_e32 v44, v44
	v_cvt_f32_i32_e32 v9, v9
	;; [unrolled: 1-line block ×3, first 2 shown]
	v_cvt_f16_f32_e32 v38, v38
	v_cvt_f16_f32_e32 v2, v2
	v_cvt_f32_i32_e32 v50, v50
	v_cvt_f32_i32_e32 v11, v11
	v_cvt_f16_f32_e32 v39, v39
	v_cvt_f16_f32_e32 v40, v40
	;; [unrolled: 1-line block ×4, first 2 shown]
	v_cvt_f32_i32_e32 v51, v51
	v_cvt_f32_i32_e32 v52, v52
	v_cvt_f16_f32_e32 v42, v42
	v_cvt_f16_f32_e32 v43, v43
	v_pack_b32_f16 v30, v30, v31
	v_cvt_f16_f32_e32 v31, v45
	v_cvt_f16_f32_e32 v45, v47
	;; [unrolled: 1-line block ×3, first 2 shown]
	v_pack_b32_f16 v33, v33, v34
	v_pack_b32_f16 v1, v35, v1
	v_cvt_f16_f32_e32 v34, v48
	v_cvt_f16_f32_e32 v35, v49
	v_pack_b32_f16 v36, v36, v37
	v_cvt_f16_f32_e32 v49, v53
	v_cvt_f16_f32_e32 v12, v12
	;; [unrolled: 1-line block ×4, first 2 shown]
	v_pack_b32_f16 v0, v32, v0
	v_cvt_f16_f32_e32 v32, v46
	v_cvt_f16_f32_e32 v48, v50
	v_cvt_f16_f32_e32 v11, v11
	v_pack_b32_f16 v2, v38, v2
	v_cvt_f16_f32_e32 v37, v51
	v_cvt_f16_f32_e32 v38, v52
	v_pack_b32_f16 v39, v39, v40
	v_pack_b32_f16 v3, v41, v3
	;; [unrolled: 1-line block ×6, first 2 shown]
	v_pk_mul_f16 v12, v20, v30
	v_pk_mul_f16 v30, v18, v36
	v_pack_b32_f16 v46, v44, v9
	v_pack_b32_f16 v9, v31, v32
	;; [unrolled: 1-line block ×4, first 2 shown]
	v_pk_mul_f16 v34, v19, v33
	v_pk_mul_f16 v36, v21, v39
	;; [unrolled: 1-line block ×6, first 2 shown]
	v_and_b32_e32 v2, 0xffff, v12
	v_and_b32_e32 v3, 0xffff, v30
	v_lshrrev_b32_e32 v12, 16, v12
	v_lshrrev_b32_e32 v37, 16, v30
	v_pk_mul_f16 v50, v20, v40
	v_pk_mul_f16 v51, v18, v10
	v_pk_mul_f16 v35, v19, v9
	v_pk_mul_f16 v33, v21, v11
	v_and_b32_e32 v44, 0xffff, v0
	v_and_b32_e32 v45, 0xffff, v1
	v_lshrrev_b32_e32 v42, 16, v0
	v_lshrrev_b32_e32 v43, 16, v1
	v_pk_mul_f16 v30, v20, v46
	v_pk_mul_f16 v31, v19, v47
	;; [unrolled: 1-line block ×3, first 2 shown]
	v_lshl_or_b32 v9, v34, 16, v2
	v_lshl_or_b32 v10, v36, 16, v3
	v_and_or_b32 v11, 0xffff0000, v34, v12
	v_and_or_b32 v12, 0xffff0000, v36, v37
	v_and_b32_e32 v40, 0xffff, v50
	v_and_b32_e32 v41, 0xffff, v51
	v_lshrrev_b32_e32 v37, 16, v50
	v_lshrrev_b32_e32 v36, 16, v51
	v_pk_mul_f16 v34, v21, v49
	s_cbranch_vccnz .LBB0_21
; %bb.11:                               ;   in Loop: Header=BB0_8 Depth=1
	v_mov_b32_e32 v0, s16
	v_pk_mul_f16 v46, v20, v46
	ds_read_b128 v[50:53], v0
	ds_read_b128 v[0:3], v0 offset:16
	s_waitcnt lgkmcnt(1)
	v_mad_u64_u32 v[54:55], null, v50, s1, v[4:5]
	v_mad_u64_u32 v[50:51], null, v51, s1, v[4:5]
	v_ashrrev_i32_e32 v55, 31, v54
	v_ashrrev_i32_e32 v51, 31, v50
	v_lshlrev_b64 v[54:55], 1, v[54:55]
	v_lshlrev_b64 v[50:51], 1, v[50:51]
	v_add_co_u32 v54, vcc_lo, s4, v54
	v_add_co_ci_u32_e64 v55, null, s5, v55, vcc_lo
	v_add_co_u32 v50, vcc_lo, s4, v50
	v_add_co_ci_u32_e64 v51, null, s5, v51, vcc_lo
	global_store_dwordx2 v[54:55], v[9:10], off
	v_mad_u64_u32 v[54:55], null, v52, s1, v[4:5]
	v_mad_u64_u32 v[52:53], null, v53, s1, v[4:5]
	global_store_dwordx2 v[50:51], v[11:12], off
	v_lshl_or_b32 v50, v38, 16, v44
	v_lshl_or_b32 v51, v39, 16, v45
	v_ashrrev_i32_e32 v55, 31, v54
	v_ashrrev_i32_e32 v53, 31, v52
	v_lshlrev_b64 v[54:55], 1, v[54:55]
	v_lshlrev_b64 v[52:53], 1, v[52:53]
	v_add_co_u32 v54, vcc_lo, s4, v54
	v_add_co_ci_u32_e64 v55, null, s5, v55, vcc_lo
	v_add_co_u32 v52, vcc_lo, s4, v52
	v_add_co_ci_u32_e64 v53, null, s5, v53, vcc_lo
	global_store_dwordx2 v[54:55], v[50:51], off
	v_and_or_b32 v50, 0xffff0000, v38, v42
	v_and_or_b32 v51, 0xffff0000, v39, v43
	global_store_dwordx2 v[52:53], v[50:51], off
	s_waitcnt lgkmcnt(0)
	v_mad_u64_u32 v[52:53], null, v0, s1, v[4:5]
	v_mad_u64_u32 v[0:1], null, v1, s1, v[4:5]
	v_lshl_or_b32 v50, v35, 16, v40
	v_lshl_or_b32 v51, v33, 16, v41
	v_ashrrev_i32_e32 v53, 31, v52
	v_ashrrev_i32_e32 v1, 31, v0
	v_lshlrev_b64 v[52:53], 1, v[52:53]
	v_lshlrev_b64 v[0:1], 1, v[0:1]
	v_add_co_u32 v52, vcc_lo, s4, v52
	v_add_co_ci_u32_e64 v53, null, s5, v53, vcc_lo
	v_add_co_u32 v0, vcc_lo, s4, v0
	v_add_co_ci_u32_e64 v1, null, s5, v1, vcc_lo
	global_store_dwordx2 v[52:53], v[50:51], off
	v_and_or_b32 v50, 0xffff0000, v35, v37
	v_and_or_b32 v51, 0xffff0000, v33, v36
	global_store_dwordx2 v[0:1], v[50:51], off
	v_mad_u64_u32 v[50:51], null, v2, s1, v[4:5]
	v_pk_mul_f16 v0, v19, v47
	v_pk_mul_f16 v47, v18, v48
	;; [unrolled: 1-line block ×3, first 2 shown]
	v_and_b32_e32 v48, 0xffff, v46
	v_ashrrev_i32_e32 v51, 31, v50
	v_and_b32_e32 v49, 0xffff, v47
	v_lshl_or_b32 v48, v0, 16, v48
	v_lshlrev_b64 v[50:51], 1, v[50:51]
	v_lshl_or_b32 v49, v1, 16, v49
	v_add_co_u32 v50, vcc_lo, s4, v50
	v_add_co_ci_u32_e64 v51, null, s5, v51, vcc_lo
	global_store_dwordx2 v[50:51], v[48:49], off
	s_cbranch_execnz .LBB0_13
.LBB0_12:                               ;   in Loop: Header=BB0_8 Depth=1
	v_add_nc_u32_e32 v0, s45, v13
	v_add_nc_u32_e32 v2, s46, v13
	;; [unrolled: 1-line block ×4, first 2 shown]
	v_lshl_or_b32 v44, v38, 16, v44
	v_ashrrev_i32_e32 v1, 31, v0
	v_ashrrev_i32_e32 v3, 31, v2
	;; [unrolled: 1-line block ×4, first 2 shown]
	v_lshl_or_b32 v45, v39, 16, v45
	v_lshlrev_b64 v[0:1], 1, v[0:1]
	v_lshlrev_b64 v[2:3], 1, v[2:3]
	;; [unrolled: 1-line block ×3, first 2 shown]
	v_lshl_or_b32 v40, v35, 16, v40
	v_lshl_or_b32 v41, v33, 16, v41
	v_and_or_b32 v35, 0xffff0000, v35, v37
	v_add_co_u32 v0, vcc_lo, s4, v0
	v_add_co_ci_u32_e64 v1, null, s5, v1, vcc_lo
	v_add_co_u32 v2, vcc_lo, s4, v2
	v_add_co_ci_u32_e64 v3, null, s5, v3, vcc_lo
	global_store_dwordx2 v[0:1], v[9:10], off
	global_store_dwordx2 v[2:3], v[11:12], off
	v_add_nc_u32_e32 v0, s41, v13
	v_lshlrev_b64 v[2:3], 1, v[48:49]
	v_add_co_u32 v46, vcc_lo, s4, v46
	v_add_nc_u32_e32 v11, s42, v13
	v_ashrrev_i32_e32 v1, 31, v0
	v_add_co_ci_u32_e64 v47, null, s5, v47, vcc_lo
	v_and_or_b32 v9, 0xffff0000, v38, v42
	v_add_co_u32 v38, vcc_lo, s4, v2
	v_lshlrev_b64 v[0:1], 1, v[0:1]
	v_add_nc_u32_e32 v2, s40, v13
	v_ashrrev_i32_e32 v12, 31, v11
	v_and_or_b32 v10, 0xffff0000, v39, v43
	v_add_co_ci_u32_e64 v39, null, s5, v3, vcc_lo
	v_ashrrev_i32_e32 v3, 31, v2
	v_add_co_u32 v42, vcc_lo, s4, v0
	v_add_co_ci_u32_e64 v43, null, s5, v1, vcc_lo
	v_lshlrev_b64 v[0:1], 1, v[11:12]
	v_lshlrev_b64 v[2:3], 1, v[2:3]
	v_and_or_b32 v36, 0xffff0000, v33, v36
	v_and_b32_e32 v33, 0xffff, v30
	v_and_b32_e32 v37, 0xffff, v32
	s_add_i32 s47, s14, 7
	v_add_co_u32 v11, vcc_lo, s4, v0
	v_add_co_ci_u32_e64 v12, null, s5, v1, vcc_lo
	v_add_co_u32 v48, vcc_lo, s4, v2
	global_store_dwordx2 v[46:47], v[44:45], off
	v_add_co_ci_u32_e64 v49, null, s5, v3, vcc_lo
	v_mov_b32_e32 v3, s47
	v_mov_b32_e32 v46, v30
	;; [unrolled: 1-line block ×5, first 2 shown]
	v_lshl_or_b32 v44, v31, 16, v33
	v_lshl_or_b32 v45, v34, 16, v37
	global_store_dwordx2 v[38:39], v[9:10], off
	global_store_dwordx2 v[42:43], v[40:41], off
	;; [unrolled: 1-line block ×4, first 2 shown]
.LBB0_13:                               ;   in Loop: Header=BB0_8 Depth=1
	v_add_co_u32 v7, vcc_lo, v7, s6
	v_add_co_ci_u32_e64 v8, null, s7, v8, vcc_lo
	v_lshrrev_b32_e32 v34, 16, v46
	v_lshrrev_b32_e32 v35, 16, v47
	v_mad_u64_u32 v[2:3], null, v3, s1, v[4:5]
	global_load_dwordx4 v[9:12], v[7:8], off
	v_add_co_u32 v7, vcc_lo, v7, s6
	v_add_co_ci_u32_e64 v8, null, s7, v8, vcc_lo
	v_and_or_b32 v0, 0xffff0000, v0, v34
	v_and_or_b32 v1, 0xffff0000, v1, v35
	v_ashrrev_i32_e32 v3, 31, v2
	global_load_dwordx4 v[30:33], v[7:8], off
	v_lshlrev_b64 v[2:3], 1, v[2:3]
	v_add_co_u32 v2, vcc_lo, s4, v2
	v_add_co_ci_u32_e64 v3, null, s5, v3, vcc_lo
	s_andn2_b32 vcc_lo, exec_lo, s15
	global_store_dwordx2 v[2:3], v[0:1], off
	s_waitcnt vmcnt(1)
	v_sub_nc_u32_sdwa v34, v9, v29 dst_sel:DWORD dst_unused:UNUSED_PAD src0_sel:BYTE_0 src1_sel:DWORD
	v_sub_nc_u32_sdwa v35, v9, v29 dst_sel:DWORD dst_unused:UNUSED_PAD src0_sel:BYTE_1 src1_sel:DWORD
	v_sub_nc_u32_sdwa v36, v9, v29 dst_sel:DWORD dst_unused:UNUSED_PAD src0_sel:BYTE_2 src1_sel:DWORD
	v_sub_nc_u32_sdwa v9, v9, v29 dst_sel:DWORD dst_unused:UNUSED_PAD src0_sel:BYTE_3 src1_sel:DWORD
	v_sub_nc_u32_sdwa v37, v10, v28 dst_sel:DWORD dst_unused:UNUSED_PAD src0_sel:BYTE_0 src1_sel:DWORD
	v_sub_nc_u32_sdwa v38, v10, v28 dst_sel:DWORD dst_unused:UNUSED_PAD src0_sel:BYTE_1 src1_sel:DWORD
	v_sub_nc_u32_sdwa v39, v10, v28 dst_sel:DWORD dst_unused:UNUSED_PAD src0_sel:BYTE_2 src1_sel:DWORD
	v_sub_nc_u32_sdwa v10, v10, v28 dst_sel:DWORD dst_unused:UNUSED_PAD src0_sel:BYTE_3 src1_sel:DWORD
	;; [unrolled: 4-line block ×4, first 2 shown]
	v_cvt_f32_i32_e32 v34, v34
	v_cvt_f32_i32_e32 v35, v35
	;; [unrolled: 1-line block ×4, first 2 shown]
	s_waitcnt vmcnt(0)
	v_sub_nc_u32_sdwa v46, v30, v29 dst_sel:DWORD dst_unused:UNUSED_PAD src0_sel:BYTE_0 src1_sel:DWORD
	v_sub_nc_u32_sdwa v47, v30, v29 dst_sel:DWORD dst_unused:UNUSED_PAD src0_sel:BYTE_1 src1_sel:DWORD
	v_sub_nc_u32_sdwa v48, v30, v29 dst_sel:DWORD dst_unused:UNUSED_PAD src0_sel:BYTE_2 src1_sel:DWORD
	v_sub_nc_u32_sdwa v30, v30, v29 dst_sel:DWORD dst_unused:UNUSED_PAD src0_sel:BYTE_3 src1_sel:DWORD
	v_cvt_f32_i32_e32 v37, v37
	v_cvt_f32_i32_e32 v38, v38
	;; [unrolled: 1-line block ×4, first 2 shown]
	v_sub_nc_u32_sdwa v49, v31, v28 dst_sel:DWORD dst_unused:UNUSED_PAD src0_sel:BYTE_0 src1_sel:DWORD
	v_sub_nc_u32_sdwa v50, v31, v28 dst_sel:DWORD dst_unused:UNUSED_PAD src0_sel:BYTE_1 src1_sel:DWORD
	v_sub_nc_u32_sdwa v51, v31, v28 dst_sel:DWORD dst_unused:UNUSED_PAD src0_sel:BYTE_2 src1_sel:DWORD
	v_sub_nc_u32_sdwa v31, v31, v28 dst_sel:DWORD dst_unused:UNUSED_PAD src0_sel:BYTE_3 src1_sel:DWORD
	v_cvt_f32_i32_e32 v40, v40
	v_cvt_f32_i32_e32 v41, v41
	v_sub_nc_u32_sdwa v52, v32, v27 dst_sel:DWORD dst_unused:UNUSED_PAD src0_sel:BYTE_0 src1_sel:DWORD
	v_sub_nc_u32_sdwa v53, v32, v27 dst_sel:DWORD dst_unused:UNUSED_PAD src0_sel:BYTE_1 src1_sel:DWORD
	v_sub_nc_u32_sdwa v55, v33, v26 dst_sel:DWORD dst_unused:UNUSED_PAD src0_sel:BYTE_0 src1_sel:DWORD
	v_sub_nc_u32_sdwa v56, v33, v26 dst_sel:DWORD dst_unused:UNUSED_PAD src0_sel:BYTE_1 src1_sel:DWORD
	v_sub_nc_u32_sdwa v57, v33, v26 dst_sel:DWORD dst_unused:UNUSED_PAD src0_sel:BYTE_2 src1_sel:DWORD
	v_sub_nc_u32_sdwa v33, v33, v26 dst_sel:DWORD dst_unused:UNUSED_PAD src0_sel:BYTE_3 src1_sel:DWORD
	v_cvt_f32_i32_e32 v42, v42
	v_cvt_f32_i32_e32 v11, v11
	v_sub_nc_u32_sdwa v54, v32, v27 dst_sel:DWORD dst_unused:UNUSED_PAD src0_sel:BYTE_2 src1_sel:DWORD
	v_sub_nc_u32_sdwa v32, v32, v27 dst_sel:DWORD dst_unused:UNUSED_PAD src0_sel:BYTE_3 src1_sel:DWORD
	v_cvt_f32_i32_e32 v43, v43
	v_cvt_f32_i32_e32 v44, v44
	;; [unrolled: 1-line block ×4, first 2 shown]
	v_cvt_f16_f32_e32 v34, v34
	v_cvt_f16_f32_e32 v35, v35
	;; [unrolled: 1-line block ×4, first 2 shown]
	v_cvt_f32_i32_e32 v46, v46
	v_cvt_f32_i32_e32 v47, v47
	;; [unrolled: 1-line block ×4, first 2 shown]
	v_cvt_f16_f32_e32 v37, v37
	v_cvt_f16_f32_e32 v38, v38
	;; [unrolled: 1-line block ×4, first 2 shown]
	v_cvt_f32_i32_e32 v49, v49
	v_cvt_f32_i32_e32 v50, v50
	;; [unrolled: 1-line block ×4, first 2 shown]
	v_cvt_f16_f32_e32 v40, v40
	v_cvt_f16_f32_e32 v41, v41
	v_cvt_f32_i32_e32 v52, v52
	v_cvt_f32_i32_e32 v53, v53
	;; [unrolled: 1-line block ×4, first 2 shown]
	v_cvt_f16_f32_e32 v42, v42
	v_cvt_f16_f32_e32 v11, v11
	v_cvt_f32_i32_e32 v54, v54
	v_cvt_f32_i32_e32 v32, v32
	v_cvt_f16_f32_e32 v43, v43
	v_cvt_f16_f32_e32 v44, v44
	;; [unrolled: 1-line block ×4, first 2 shown]
	v_cvt_f32_i32_e32 v55, v55
	v_cvt_f32_i32_e32 v56, v56
	v_cvt_f16_f32_e32 v46, v46
	v_cvt_f16_f32_e32 v47, v47
	v_cvt_f16_f32_e32 v48, v48
	v_cvt_f16_f32_e32 v30, v30
	v_pack_b32_f16 v34, v34, v35
	v_pack_b32_f16 v9, v36, v9
	v_cvt_f16_f32_e32 v35, v49
	v_cvt_f16_f32_e32 v36, v50
	;; [unrolled: 1-line block ×4, first 2 shown]
	v_pack_b32_f16 v37, v37, v38
	v_pack_b32_f16 v10, v39, v10
	v_cvt_f16_f32_e32 v38, v52
	v_cvt_f16_f32_e32 v39, v53
	v_pack_b32_f16 v40, v40, v41
	v_cvt_f16_f32_e32 v51, v57
	v_cvt_f16_f32_e32 v33, v33
	;; [unrolled: 1-line block ×4, first 2 shown]
	v_pack_b32_f16 v11, v42, v11
	v_cvt_f16_f32_e32 v41, v55
	v_cvt_f16_f32_e32 v42, v56
	v_pack_b32_f16 v43, v43, v44
	v_pack_b32_f16 v12, v45, v12
	;; [unrolled: 1-line block ×8, first 2 shown]
	v_pk_mul_f16 v33, v20, v34
	v_pk_mul_f16 v35, v18, v40
	v_pack_b32_f16 v48, v50, v32
	v_pack_b32_f16 v32, v41, v42
	v_pk_mul_f16 v34, v19, v37
	v_pk_mul_f16 v36, v21, v43
	;; [unrolled: 1-line block ×6, first 2 shown]
	v_and_b32_e32 v11, 0xffff, v33
	v_and_b32_e32 v12, 0xffff, v35
	v_lshrrev_b32_e32 v37, 16, v33
	v_lshrrev_b32_e32 v40, 16, v35
	v_pk_mul_f16 v50, v20, v44
	v_pk_mul_f16 v51, v18, v31
	;; [unrolled: 1-line block ×4, first 2 shown]
	v_and_b32_e32 v44, 0xffff, v9
	v_and_b32_e32 v45, 0xffff, v10
	v_lshrrev_b32_e32 v42, 16, v9
	v_lshrrev_b32_e32 v43, 16, v10
	v_pk_mul_f16 v30, v20, v46
	v_pk_mul_f16 v31, v19, v47
	;; [unrolled: 1-line block ×3, first 2 shown]
	v_lshl_or_b32 v9, v34, 16, v11
	v_lshl_or_b32 v10, v36, 16, v12
	v_and_or_b32 v11, 0xffff0000, v34, v37
	v_and_or_b32 v12, 0xffff0000, v36, v40
	v_and_b32_e32 v40, 0xffff, v50
	v_and_b32_e32 v41, 0xffff, v51
	v_lshrrev_b32_e32 v37, 16, v50
	v_lshrrev_b32_e32 v36, 16, v51
	v_pk_mul_f16 v34, v21, v49
	s_cbranch_vccnz .LBB0_22
; %bb.14:                               ;   in Loop: Header=BB0_8 Depth=1
	v_mov_b32_e32 v0, s16
	v_pk_mul_f16 v46, v20, v46
	ds_read_b128 v[50:53], v0 offset:32
	ds_read_b128 v[0:3], v0 offset:48
	s_waitcnt lgkmcnt(1)
	v_mad_u64_u32 v[54:55], null, v50, s1, v[4:5]
	v_mad_u64_u32 v[50:51], null, v51, s1, v[4:5]
	v_ashrrev_i32_e32 v55, 31, v54
	v_ashrrev_i32_e32 v51, 31, v50
	v_lshlrev_b64 v[54:55], 1, v[54:55]
	v_lshlrev_b64 v[50:51], 1, v[50:51]
	v_add_co_u32 v54, vcc_lo, s4, v54
	v_add_co_ci_u32_e64 v55, null, s5, v55, vcc_lo
	v_add_co_u32 v50, vcc_lo, s4, v50
	v_add_co_ci_u32_e64 v51, null, s5, v51, vcc_lo
	global_store_dwordx2 v[54:55], v[9:10], off
	v_mad_u64_u32 v[54:55], null, v52, s1, v[4:5]
	v_mad_u64_u32 v[52:53], null, v53, s1, v[4:5]
	global_store_dwordx2 v[50:51], v[11:12], off
	v_lshl_or_b32 v50, v38, 16, v44
	v_lshl_or_b32 v51, v39, 16, v45
	v_ashrrev_i32_e32 v55, 31, v54
	v_ashrrev_i32_e32 v53, 31, v52
	v_lshlrev_b64 v[54:55], 1, v[54:55]
	v_lshlrev_b64 v[52:53], 1, v[52:53]
	v_add_co_u32 v54, vcc_lo, s4, v54
	v_add_co_ci_u32_e64 v55, null, s5, v55, vcc_lo
	v_add_co_u32 v52, vcc_lo, s4, v52
	v_add_co_ci_u32_e64 v53, null, s5, v53, vcc_lo
	global_store_dwordx2 v[54:55], v[50:51], off
	v_and_or_b32 v50, 0xffff0000, v38, v42
	v_and_or_b32 v51, 0xffff0000, v39, v43
	global_store_dwordx2 v[52:53], v[50:51], off
	s_waitcnt lgkmcnt(0)
	v_mad_u64_u32 v[52:53], null, v0, s1, v[4:5]
	v_mad_u64_u32 v[0:1], null, v1, s1, v[4:5]
	v_lshl_or_b32 v50, v35, 16, v40
	v_lshl_or_b32 v51, v33, 16, v41
	v_ashrrev_i32_e32 v53, 31, v52
	v_ashrrev_i32_e32 v1, 31, v0
	v_lshlrev_b64 v[52:53], 1, v[52:53]
	v_lshlrev_b64 v[0:1], 1, v[0:1]
	v_add_co_u32 v52, vcc_lo, s4, v52
	v_add_co_ci_u32_e64 v53, null, s5, v53, vcc_lo
	v_add_co_u32 v0, vcc_lo, s4, v0
	v_add_co_ci_u32_e64 v1, null, s5, v1, vcc_lo
	global_store_dwordx2 v[52:53], v[50:51], off
	v_and_or_b32 v50, 0xffff0000, v35, v37
	v_and_or_b32 v51, 0xffff0000, v33, v36
	global_store_dwordx2 v[0:1], v[50:51], off
	v_mad_u64_u32 v[50:51], null, v2, s1, v[4:5]
	v_pk_mul_f16 v0, v19, v47
	v_pk_mul_f16 v47, v18, v48
	;; [unrolled: 1-line block ×3, first 2 shown]
	v_and_b32_e32 v48, 0xffff, v46
	v_ashrrev_i32_e32 v51, 31, v50
	v_and_b32_e32 v49, 0xffff, v47
	v_lshl_or_b32 v48, v0, 16, v48
	v_lshlrev_b64 v[50:51], 1, v[50:51]
	v_lshl_or_b32 v49, v1, 16, v49
	v_add_co_u32 v50, vcc_lo, s4, v50
	v_add_co_ci_u32_e64 v51, null, s5, v51, vcc_lo
	global_store_dwordx2 v[50:51], v[48:49], off
	s_cbranch_execnz .LBB0_16
.LBB0_15:                               ;   in Loop: Header=BB0_8 Depth=1
	v_add_nc_u32_e32 v0, s39, v13
	v_add_nc_u32_e32 v2, s38, v13
	;; [unrolled: 1-line block ×4, first 2 shown]
	v_lshl_or_b32 v44, v38, 16, v44
	v_ashrrev_i32_e32 v1, 31, v0
	v_ashrrev_i32_e32 v3, 31, v2
	v_ashrrev_i32_e32 v47, 31, v46
	v_ashrrev_i32_e32 v49, 31, v48
	v_lshl_or_b32 v45, v39, 16, v45
	v_lshlrev_b64 v[0:1], 1, v[0:1]
	v_lshlrev_b64 v[2:3], 1, v[2:3]
	;; [unrolled: 1-line block ×3, first 2 shown]
	v_lshl_or_b32 v40, v35, 16, v40
	v_lshl_or_b32 v41, v33, 16, v41
	v_and_or_b32 v35, 0xffff0000, v35, v37
	v_add_co_u32 v0, vcc_lo, s4, v0
	v_add_co_ci_u32_e64 v1, null, s5, v1, vcc_lo
	v_add_co_u32 v2, vcc_lo, s4, v2
	v_add_co_ci_u32_e64 v3, null, s5, v3, vcc_lo
	global_store_dwordx2 v[0:1], v[9:10], off
	global_store_dwordx2 v[2:3], v[11:12], off
	v_add_nc_u32_e32 v0, s34, v13
	v_lshlrev_b64 v[2:3], 1, v[48:49]
	v_add_co_u32 v46, vcc_lo, s4, v46
	v_add_nc_u32_e32 v11, s35, v13
	v_ashrrev_i32_e32 v1, 31, v0
	v_add_co_ci_u32_e64 v47, null, s5, v47, vcc_lo
	v_and_or_b32 v9, 0xffff0000, v38, v42
	v_add_co_u32 v38, vcc_lo, s4, v2
	v_lshlrev_b64 v[0:1], 1, v[0:1]
	v_add_nc_u32_e32 v2, s33, v13
	v_ashrrev_i32_e32 v12, 31, v11
	v_and_or_b32 v10, 0xffff0000, v39, v43
	v_add_co_ci_u32_e64 v39, null, s5, v3, vcc_lo
	v_ashrrev_i32_e32 v3, 31, v2
	v_add_co_u32 v42, vcc_lo, s4, v0
	v_add_co_ci_u32_e64 v43, null, s5, v1, vcc_lo
	v_lshlrev_b64 v[0:1], 1, v[11:12]
	v_lshlrev_b64 v[2:3], 1, v[2:3]
	v_and_or_b32 v36, 0xffff0000, v33, v36
	v_and_b32_e32 v33, 0xffff, v30
	v_and_b32_e32 v37, 0xffff, v32
	s_add_i32 s47, s14, 15
	v_add_co_u32 v11, vcc_lo, s4, v0
	v_add_co_ci_u32_e64 v12, null, s5, v1, vcc_lo
	v_add_co_u32 v48, vcc_lo, s4, v2
	global_store_dwordx2 v[46:47], v[44:45], off
	v_add_co_ci_u32_e64 v49, null, s5, v3, vcc_lo
	v_mov_b32_e32 v3, s47
	v_mov_b32_e32 v46, v30
	v_mov_b32_e32 v0, v31
	v_mov_b32_e32 v47, v32
	v_mov_b32_e32 v1, v34
	v_lshl_or_b32 v44, v31, 16, v33
	v_lshl_or_b32 v45, v34, 16, v37
	global_store_dwordx2 v[38:39], v[9:10], off
	global_store_dwordx2 v[42:43], v[40:41], off
	;; [unrolled: 1-line block ×4, first 2 shown]
.LBB0_16:                               ;   in Loop: Header=BB0_8 Depth=1
	v_add_co_u32 v7, vcc_lo, v7, s6
	v_add_co_ci_u32_e64 v8, null, s7, v8, vcc_lo
	v_lshrrev_b32_e32 v34, 16, v46
	v_lshrrev_b32_e32 v35, 16, v47
	v_mad_u64_u32 v[2:3], null, v3, s1, v[4:5]
	global_load_dwordx4 v[9:12], v[7:8], off
	v_add_co_u32 v7, vcc_lo, v7, s6
	v_add_co_ci_u32_e64 v8, null, s7, v8, vcc_lo
	v_and_or_b32 v0, 0xffff0000, v0, v34
	v_and_or_b32 v1, 0xffff0000, v1, v35
	v_ashrrev_i32_e32 v3, 31, v2
	global_load_dwordx4 v[30:33], v[7:8], off
	v_lshlrev_b64 v[2:3], 1, v[2:3]
	v_add_co_u32 v2, vcc_lo, s4, v2
	v_add_co_ci_u32_e64 v3, null, s5, v3, vcc_lo
	s_andn2_b32 vcc_lo, exec_lo, s15
	global_store_dwordx2 v[2:3], v[0:1], off
	s_waitcnt vmcnt(1)
	v_sub_nc_u32_sdwa v34, v9, v29 dst_sel:DWORD dst_unused:UNUSED_PAD src0_sel:BYTE_0 src1_sel:DWORD
	v_sub_nc_u32_sdwa v35, v9, v29 dst_sel:DWORD dst_unused:UNUSED_PAD src0_sel:BYTE_1 src1_sel:DWORD
	v_sub_nc_u32_sdwa v36, v9, v29 dst_sel:DWORD dst_unused:UNUSED_PAD src0_sel:BYTE_2 src1_sel:DWORD
	v_sub_nc_u32_sdwa v9, v9, v29 dst_sel:DWORD dst_unused:UNUSED_PAD src0_sel:BYTE_3 src1_sel:DWORD
	v_sub_nc_u32_sdwa v37, v10, v28 dst_sel:DWORD dst_unused:UNUSED_PAD src0_sel:BYTE_0 src1_sel:DWORD
	v_sub_nc_u32_sdwa v38, v10, v28 dst_sel:DWORD dst_unused:UNUSED_PAD src0_sel:BYTE_1 src1_sel:DWORD
	v_sub_nc_u32_sdwa v39, v10, v28 dst_sel:DWORD dst_unused:UNUSED_PAD src0_sel:BYTE_2 src1_sel:DWORD
	v_sub_nc_u32_sdwa v10, v10, v28 dst_sel:DWORD dst_unused:UNUSED_PAD src0_sel:BYTE_3 src1_sel:DWORD
	;; [unrolled: 4-line block ×4, first 2 shown]
	v_cvt_f32_i32_e32 v34, v34
	v_cvt_f32_i32_e32 v35, v35
	;; [unrolled: 1-line block ×4, first 2 shown]
	s_waitcnt vmcnt(0)
	v_sub_nc_u32_sdwa v46, v30, v29 dst_sel:DWORD dst_unused:UNUSED_PAD src0_sel:BYTE_0 src1_sel:DWORD
	v_sub_nc_u32_sdwa v47, v30, v29 dst_sel:DWORD dst_unused:UNUSED_PAD src0_sel:BYTE_1 src1_sel:DWORD
	v_sub_nc_u32_sdwa v48, v30, v29 dst_sel:DWORD dst_unused:UNUSED_PAD src0_sel:BYTE_2 src1_sel:DWORD
	v_sub_nc_u32_sdwa v30, v30, v29 dst_sel:DWORD dst_unused:UNUSED_PAD src0_sel:BYTE_3 src1_sel:DWORD
	v_cvt_f32_i32_e32 v37, v37
	v_cvt_f32_i32_e32 v38, v38
	;; [unrolled: 1-line block ×4, first 2 shown]
	v_sub_nc_u32_sdwa v49, v31, v28 dst_sel:DWORD dst_unused:UNUSED_PAD src0_sel:BYTE_0 src1_sel:DWORD
	v_sub_nc_u32_sdwa v50, v31, v28 dst_sel:DWORD dst_unused:UNUSED_PAD src0_sel:BYTE_1 src1_sel:DWORD
	v_sub_nc_u32_sdwa v51, v31, v28 dst_sel:DWORD dst_unused:UNUSED_PAD src0_sel:BYTE_2 src1_sel:DWORD
	v_sub_nc_u32_sdwa v31, v31, v28 dst_sel:DWORD dst_unused:UNUSED_PAD src0_sel:BYTE_3 src1_sel:DWORD
	v_cvt_f32_i32_e32 v40, v40
	v_cvt_f32_i32_e32 v41, v41
	v_sub_nc_u32_sdwa v52, v32, v27 dst_sel:DWORD dst_unused:UNUSED_PAD src0_sel:BYTE_0 src1_sel:DWORD
	v_sub_nc_u32_sdwa v53, v32, v27 dst_sel:DWORD dst_unused:UNUSED_PAD src0_sel:BYTE_1 src1_sel:DWORD
	v_sub_nc_u32_sdwa v55, v33, v26 dst_sel:DWORD dst_unused:UNUSED_PAD src0_sel:BYTE_0 src1_sel:DWORD
	v_sub_nc_u32_sdwa v56, v33, v26 dst_sel:DWORD dst_unused:UNUSED_PAD src0_sel:BYTE_1 src1_sel:DWORD
	v_sub_nc_u32_sdwa v57, v33, v26 dst_sel:DWORD dst_unused:UNUSED_PAD src0_sel:BYTE_2 src1_sel:DWORD
	v_sub_nc_u32_sdwa v33, v33, v26 dst_sel:DWORD dst_unused:UNUSED_PAD src0_sel:BYTE_3 src1_sel:DWORD
	v_cvt_f32_i32_e32 v42, v42
	v_cvt_f32_i32_e32 v11, v11
	v_sub_nc_u32_sdwa v54, v32, v27 dst_sel:DWORD dst_unused:UNUSED_PAD src0_sel:BYTE_2 src1_sel:DWORD
	v_sub_nc_u32_sdwa v32, v32, v27 dst_sel:DWORD dst_unused:UNUSED_PAD src0_sel:BYTE_3 src1_sel:DWORD
	v_cvt_f32_i32_e32 v43, v43
	v_cvt_f32_i32_e32 v44, v44
	;; [unrolled: 1-line block ×4, first 2 shown]
	v_cvt_f16_f32_e32 v34, v34
	v_cvt_f16_f32_e32 v35, v35
	;; [unrolled: 1-line block ×4, first 2 shown]
	v_cvt_f32_i32_e32 v46, v46
	v_cvt_f32_i32_e32 v47, v47
	;; [unrolled: 1-line block ×4, first 2 shown]
	v_cvt_f16_f32_e32 v37, v37
	v_cvt_f16_f32_e32 v38, v38
	;; [unrolled: 1-line block ×4, first 2 shown]
	v_cvt_f32_i32_e32 v49, v49
	v_cvt_f32_i32_e32 v50, v50
	;; [unrolled: 1-line block ×4, first 2 shown]
	v_cvt_f16_f32_e32 v40, v40
	v_cvt_f16_f32_e32 v41, v41
	v_cvt_f32_i32_e32 v52, v52
	v_cvt_f32_i32_e32 v53, v53
	;; [unrolled: 1-line block ×4, first 2 shown]
	v_cvt_f16_f32_e32 v42, v42
	v_cvt_f16_f32_e32 v11, v11
	v_cvt_f32_i32_e32 v54, v54
	v_cvt_f32_i32_e32 v32, v32
	v_cvt_f16_f32_e32 v43, v43
	v_cvt_f16_f32_e32 v44, v44
	v_cvt_f16_f32_e32 v45, v45
	v_cvt_f16_f32_e32 v12, v12
	v_cvt_f32_i32_e32 v55, v55
	v_cvt_f32_i32_e32 v56, v56
	v_cvt_f16_f32_e32 v46, v46
	v_cvt_f16_f32_e32 v47, v47
	;; [unrolled: 1-line block ×4, first 2 shown]
	v_pack_b32_f16 v34, v34, v35
	v_pack_b32_f16 v9, v36, v9
	v_cvt_f16_f32_e32 v35, v49
	v_cvt_f16_f32_e32 v36, v50
	;; [unrolled: 1-line block ×4, first 2 shown]
	v_pack_b32_f16 v37, v37, v38
	v_pack_b32_f16 v10, v39, v10
	v_cvt_f16_f32_e32 v38, v52
	v_cvt_f16_f32_e32 v39, v53
	v_pack_b32_f16 v40, v40, v41
	v_cvt_f16_f32_e32 v51, v57
	v_cvt_f16_f32_e32 v33, v33
	;; [unrolled: 1-line block ×4, first 2 shown]
	v_pack_b32_f16 v11, v42, v11
	v_cvt_f16_f32_e32 v41, v55
	v_cvt_f16_f32_e32 v42, v56
	v_pack_b32_f16 v43, v43, v44
	v_pack_b32_f16 v12, v45, v12
	;; [unrolled: 1-line block ×8, first 2 shown]
	v_pk_mul_f16 v33, v20, v34
	v_pk_mul_f16 v35, v18, v40
	v_pack_b32_f16 v48, v50, v32
	v_pack_b32_f16 v32, v41, v42
	v_pk_mul_f16 v34, v19, v37
	v_pk_mul_f16 v36, v21, v43
	;; [unrolled: 1-line block ×6, first 2 shown]
	v_and_b32_e32 v11, 0xffff, v33
	v_and_b32_e32 v12, 0xffff, v35
	v_lshrrev_b32_e32 v37, 16, v33
	v_lshrrev_b32_e32 v40, 16, v35
	v_pk_mul_f16 v50, v20, v44
	v_pk_mul_f16 v51, v18, v31
	;; [unrolled: 1-line block ×4, first 2 shown]
	v_and_b32_e32 v44, 0xffff, v9
	v_and_b32_e32 v45, 0xffff, v10
	v_lshrrev_b32_e32 v42, 16, v9
	v_lshrrev_b32_e32 v43, 16, v10
	v_pk_mul_f16 v30, v20, v46
	v_pk_mul_f16 v31, v19, v47
	;; [unrolled: 1-line block ×3, first 2 shown]
	v_lshl_or_b32 v9, v34, 16, v11
	v_lshl_or_b32 v10, v36, 16, v12
	v_and_or_b32 v11, 0xffff0000, v34, v37
	v_and_or_b32 v12, 0xffff0000, v36, v40
	v_and_b32_e32 v40, 0xffff, v50
	v_and_b32_e32 v41, 0xffff, v51
	v_lshrrev_b32_e32 v37, 16, v50
	v_lshrrev_b32_e32 v36, 16, v51
	v_pk_mul_f16 v34, v21, v49
	s_cbranch_vccnz .LBB0_23
; %bb.17:                               ;   in Loop: Header=BB0_8 Depth=1
	v_mov_b32_e32 v0, s16
	v_pk_mul_f16 v46, v20, v46
	ds_read_b128 v[50:53], v0 offset:64
	ds_read_b128 v[0:3], v0 offset:80
	s_waitcnt lgkmcnt(1)
	v_mad_u64_u32 v[54:55], null, v50, s1, v[4:5]
	v_mad_u64_u32 v[50:51], null, v51, s1, v[4:5]
	v_ashrrev_i32_e32 v55, 31, v54
	v_ashrrev_i32_e32 v51, 31, v50
	v_lshlrev_b64 v[54:55], 1, v[54:55]
	v_lshlrev_b64 v[50:51], 1, v[50:51]
	v_add_co_u32 v54, vcc_lo, s4, v54
	v_add_co_ci_u32_e64 v55, null, s5, v55, vcc_lo
	v_add_co_u32 v50, vcc_lo, s4, v50
	v_add_co_ci_u32_e64 v51, null, s5, v51, vcc_lo
	global_store_dwordx2 v[54:55], v[9:10], off
	v_mad_u64_u32 v[54:55], null, v52, s1, v[4:5]
	v_mad_u64_u32 v[52:53], null, v53, s1, v[4:5]
	global_store_dwordx2 v[50:51], v[11:12], off
	v_lshl_or_b32 v50, v38, 16, v44
	v_lshl_or_b32 v51, v39, 16, v45
	v_ashrrev_i32_e32 v55, 31, v54
	v_ashrrev_i32_e32 v53, 31, v52
	v_lshlrev_b64 v[54:55], 1, v[54:55]
	v_lshlrev_b64 v[52:53], 1, v[52:53]
	v_add_co_u32 v54, vcc_lo, s4, v54
	v_add_co_ci_u32_e64 v55, null, s5, v55, vcc_lo
	v_add_co_u32 v52, vcc_lo, s4, v52
	v_add_co_ci_u32_e64 v53, null, s5, v53, vcc_lo
	global_store_dwordx2 v[54:55], v[50:51], off
	v_and_or_b32 v50, 0xffff0000, v38, v42
	v_and_or_b32 v51, 0xffff0000, v39, v43
	global_store_dwordx2 v[52:53], v[50:51], off
	s_waitcnt lgkmcnt(0)
	v_mad_u64_u32 v[52:53], null, v0, s1, v[4:5]
	v_mad_u64_u32 v[0:1], null, v1, s1, v[4:5]
	v_lshl_or_b32 v50, v35, 16, v40
	v_lshl_or_b32 v51, v33, 16, v41
	v_ashrrev_i32_e32 v53, 31, v52
	v_ashrrev_i32_e32 v1, 31, v0
	v_lshlrev_b64 v[52:53], 1, v[52:53]
	v_lshlrev_b64 v[0:1], 1, v[0:1]
	v_add_co_u32 v52, vcc_lo, s4, v52
	v_add_co_ci_u32_e64 v53, null, s5, v53, vcc_lo
	v_add_co_u32 v0, vcc_lo, s4, v0
	v_add_co_ci_u32_e64 v1, null, s5, v1, vcc_lo
	global_store_dwordx2 v[52:53], v[50:51], off
	v_and_or_b32 v50, 0xffff0000, v35, v37
	v_and_or_b32 v51, 0xffff0000, v33, v36
	global_store_dwordx2 v[0:1], v[50:51], off
	v_mad_u64_u32 v[50:51], null, v2, s1, v[4:5]
	v_pk_mul_f16 v0, v19, v47
	v_pk_mul_f16 v47, v18, v48
	;; [unrolled: 1-line block ×3, first 2 shown]
	v_and_b32_e32 v48, 0xffff, v46
	v_ashrrev_i32_e32 v51, 31, v50
	v_and_b32_e32 v49, 0xffff, v47
	v_lshl_or_b32 v48, v0, 16, v48
	v_lshlrev_b64 v[50:51], 1, v[50:51]
	v_lshl_or_b32 v49, v1, 16, v49
	v_add_co_u32 v50, vcc_lo, s4, v50
	v_add_co_ci_u32_e64 v51, null, s5, v51, vcc_lo
	global_store_dwordx2 v[50:51], v[48:49], off
	s_cbranch_execnz .LBB0_19
.LBB0_18:                               ;   in Loop: Header=BB0_8 Depth=1
	v_add_nc_u32_e32 v0, s31, v13
	v_add_nc_u32_e32 v2, s30, v13
	;; [unrolled: 1-line block ×4, first 2 shown]
	v_lshl_or_b32 v44, v38, 16, v44
	v_ashrrev_i32_e32 v1, 31, v0
	v_ashrrev_i32_e32 v3, 31, v2
	;; [unrolled: 1-line block ×4, first 2 shown]
	v_lshl_or_b32 v45, v39, 16, v45
	v_lshlrev_b64 v[0:1], 1, v[0:1]
	v_lshlrev_b64 v[2:3], 1, v[2:3]
	v_lshlrev_b64 v[46:47], 1, v[46:47]
	v_lshl_or_b32 v40, v35, 16, v40
	v_lshl_or_b32 v41, v33, 16, v41
	v_and_or_b32 v35, 0xffff0000, v35, v37
	v_add_co_u32 v0, vcc_lo, s4, v0
	v_add_co_ci_u32_e64 v1, null, s5, v1, vcc_lo
	v_add_co_u32 v2, vcc_lo, s4, v2
	v_add_co_ci_u32_e64 v3, null, s5, v3, vcc_lo
	global_store_dwordx2 v[0:1], v[9:10], off
	global_store_dwordx2 v[2:3], v[11:12], off
	v_add_nc_u32_e32 v0, s26, v13
	v_lshlrev_b64 v[2:3], 1, v[48:49]
	v_add_co_u32 v46, vcc_lo, s4, v46
	v_add_nc_u32_e32 v11, s27, v13
	v_ashrrev_i32_e32 v1, 31, v0
	v_add_co_ci_u32_e64 v47, null, s5, v47, vcc_lo
	v_and_or_b32 v9, 0xffff0000, v38, v42
	v_add_co_u32 v38, vcc_lo, s4, v2
	v_lshlrev_b64 v[0:1], 1, v[0:1]
	v_add_nc_u32_e32 v2, s25, v13
	v_ashrrev_i32_e32 v12, 31, v11
	v_and_or_b32 v10, 0xffff0000, v39, v43
	v_add_co_ci_u32_e64 v39, null, s5, v3, vcc_lo
	v_ashrrev_i32_e32 v3, 31, v2
	v_add_co_u32 v42, vcc_lo, s4, v0
	v_add_co_ci_u32_e64 v43, null, s5, v1, vcc_lo
	v_lshlrev_b64 v[0:1], 1, v[11:12]
	v_lshlrev_b64 v[2:3], 1, v[2:3]
	v_and_or_b32 v36, 0xffff0000, v33, v36
	v_and_b32_e32 v33, 0xffff, v30
	v_and_b32_e32 v37, 0xffff, v32
	s_add_i32 s47, s14, 23
	v_add_co_u32 v11, vcc_lo, s4, v0
	v_add_co_ci_u32_e64 v12, null, s5, v1, vcc_lo
	v_add_co_u32 v48, vcc_lo, s4, v2
	global_store_dwordx2 v[46:47], v[44:45], off
	v_add_co_ci_u32_e64 v49, null, s5, v3, vcc_lo
	v_mov_b32_e32 v3, s47
	v_mov_b32_e32 v46, v30
	;; [unrolled: 1-line block ×5, first 2 shown]
	v_lshl_or_b32 v44, v31, 16, v33
	v_lshl_or_b32 v45, v34, 16, v37
	global_store_dwordx2 v[38:39], v[9:10], off
	global_store_dwordx2 v[42:43], v[40:41], off
	;; [unrolled: 1-line block ×4, first 2 shown]
.LBB0_19:                               ;   in Loop: Header=BB0_8 Depth=1
	v_add_co_u32 v11, vcc_lo, v7, s6
	v_add_co_ci_u32_e64 v12, null, s7, v8, vcc_lo
	v_mad_u64_u32 v[2:3], null, v3, s1, v[4:5]
	global_load_dwordx4 v[7:10], v[11:12], off
	v_add_co_u32 v11, vcc_lo, v11, s6
	v_add_co_ci_u32_e64 v12, null, s7, v12, vcc_lo
	v_ashrrev_i32_e32 v3, 31, v2
	global_load_dwordx4 v[30:33], v[11:12], off
	v_lshrrev_b32_e32 v11, 16, v46
	v_lshrrev_b32_e32 v12, 16, v47
	v_lshlrev_b64 v[2:3], 1, v[2:3]
	v_and_or_b32 v0, 0xffff0000, v0, v11
	v_and_or_b32 v1, 0xffff0000, v1, v12
	v_add_co_u32 v2, vcc_lo, s4, v2
	v_add_co_ci_u32_e64 v3, null, s5, v3, vcc_lo
	s_andn2_b32 vcc_lo, exec_lo, s15
	global_store_dwordx2 v[2:3], v[0:1], off
	s_waitcnt vmcnt(1)
	v_sub_nc_u32_sdwa v11, v7, v29 dst_sel:DWORD dst_unused:UNUSED_PAD src0_sel:BYTE_0 src1_sel:DWORD
	v_sub_nc_u32_sdwa v12, v7, v29 dst_sel:DWORD dst_unused:UNUSED_PAD src0_sel:BYTE_1 src1_sel:DWORD
	v_sub_nc_u32_sdwa v34, v7, v29 dst_sel:DWORD dst_unused:UNUSED_PAD src0_sel:BYTE_2 src1_sel:DWORD
	v_sub_nc_u32_sdwa v35, v8, v28 dst_sel:DWORD dst_unused:UNUSED_PAD src0_sel:BYTE_0 src1_sel:DWORD
	v_sub_nc_u32_sdwa v36, v8, v28 dst_sel:DWORD dst_unused:UNUSED_PAD src0_sel:BYTE_1 src1_sel:DWORD
	v_sub_nc_u32_sdwa v37, v8, v28 dst_sel:DWORD dst_unused:UNUSED_PAD src0_sel:BYTE_2 src1_sel:DWORD
	v_sub_nc_u32_sdwa v8, v8, v28 dst_sel:DWORD dst_unused:UNUSED_PAD src0_sel:BYTE_3 src1_sel:DWORD
	v_sub_nc_u32_sdwa v38, v9, v27 dst_sel:DWORD dst_unused:UNUSED_PAD src0_sel:BYTE_0 src1_sel:DWORD
	v_sub_nc_u32_sdwa v39, v9, v27 dst_sel:DWORD dst_unused:UNUSED_PAD src0_sel:BYTE_1 src1_sel:DWORD
	v_sub_nc_u32_sdwa v40, v9, v27 dst_sel:DWORD dst_unused:UNUSED_PAD src0_sel:BYTE_2 src1_sel:DWORD
	v_sub_nc_u32_sdwa v41, v10, v26 dst_sel:DWORD dst_unused:UNUSED_PAD src0_sel:BYTE_0 src1_sel:DWORD
	v_sub_nc_u32_sdwa v42, v10, v26 dst_sel:DWORD dst_unused:UNUSED_PAD src0_sel:BYTE_1 src1_sel:DWORD
	v_sub_nc_u32_sdwa v43, v10, v26 dst_sel:DWORD dst_unused:UNUSED_PAD src0_sel:BYTE_2 src1_sel:DWORD
	v_sub_nc_u32_sdwa v7, v7, v29 dst_sel:DWORD dst_unused:UNUSED_PAD src0_sel:BYTE_3 src1_sel:DWORD
	v_sub_nc_u32_sdwa v9, v9, v27 dst_sel:DWORD dst_unused:UNUSED_PAD src0_sel:BYTE_3 src1_sel:DWORD
	;; [unrolled: 1-line block ×3, first 2 shown]
	v_cvt_f32_i32_e32 v11, v11
	v_cvt_f32_i32_e32 v12, v12
	;; [unrolled: 1-line block ×3, first 2 shown]
	s_waitcnt vmcnt(0)
	v_sub_nc_u32_sdwa v44, v30, v29 dst_sel:DWORD dst_unused:UNUSED_PAD src0_sel:BYTE_0 src1_sel:DWORD
	v_sub_nc_u32_sdwa v45, v30, v29 dst_sel:DWORD dst_unused:UNUSED_PAD src0_sel:BYTE_1 src1_sel:DWORD
	v_sub_nc_u32_sdwa v46, v30, v29 dst_sel:DWORD dst_unused:UNUSED_PAD src0_sel:BYTE_2 src1_sel:DWORD
	v_sub_nc_u32_sdwa v29, v30, v29 dst_sel:DWORD dst_unused:UNUSED_PAD src0_sel:BYTE_3 src1_sel:DWORD
	v_cvt_f32_i32_e32 v30, v35
	v_cvt_f32_i32_e32 v35, v36
	;; [unrolled: 1-line block ×4, first 2 shown]
	v_sub_nc_u32_sdwa v37, v31, v28 dst_sel:DWORD dst_unused:UNUSED_PAD src0_sel:BYTE_0 src1_sel:DWORD
	v_sub_nc_u32_sdwa v47, v31, v28 dst_sel:DWORD dst_unused:UNUSED_PAD src0_sel:BYTE_1 src1_sel:DWORD
	v_sub_nc_u32_sdwa v48, v31, v28 dst_sel:DWORD dst_unused:UNUSED_PAD src0_sel:BYTE_2 src1_sel:DWORD
	v_sub_nc_u32_sdwa v28, v31, v28 dst_sel:DWORD dst_unused:UNUSED_PAD src0_sel:BYTE_3 src1_sel:DWORD
	v_cvt_f32_i32_e32 v31, v38
	v_cvt_f32_i32_e32 v38, v39
	v_cvt_f32_i32_e32 v39, v40
	v_sub_nc_u32_sdwa v40, v32, v27 dst_sel:DWORD dst_unused:UNUSED_PAD src0_sel:BYTE_0 src1_sel:DWORD
	v_sub_nc_u32_sdwa v49, v32, v27 dst_sel:DWORD dst_unused:UNUSED_PAD src0_sel:BYTE_1 src1_sel:DWORD
	v_sub_nc_u32_sdwa v50, v32, v27 dst_sel:DWORD dst_unused:UNUSED_PAD src0_sel:BYTE_2 src1_sel:DWORD
	v_sub_nc_u32_sdwa v27, v32, v27 dst_sel:DWORD dst_unused:UNUSED_PAD src0_sel:BYTE_3 src1_sel:DWORD
	v_cvt_f32_i32_e32 v32, v41
	v_cvt_f32_i32_e32 v41, v42
	v_cvt_f32_i32_e32 v42, v43
	;; [unrolled: 7-line block ×3, first 2 shown]
	v_cvt_f16_f32_e32 v11, v11
	v_cvt_f16_f32_e32 v12, v12
	;; [unrolled: 1-line block ×3, first 2 shown]
	v_cvt_f32_i32_e32 v34, v44
	v_cvt_f32_i32_e32 v44, v45
	;; [unrolled: 1-line block ×3, first 2 shown]
	v_cvt_f16_f32_e32 v30, v30
	v_cvt_f16_f32_e32 v35, v35
	v_cvt_f16_f32_e32 v36, v36
	v_cvt_f16_f32_e32 v8, v8
	v_cvt_f32_i32_e32 v37, v37
	v_cvt_f32_i32_e32 v46, v47
	;; [unrolled: 1-line block ×4, first 2 shown]
	v_cvt_f16_f32_e32 v31, v31
	v_cvt_f16_f32_e32 v38, v38
	v_cvt_f32_i32_e32 v40, v40
	v_cvt_f32_i32_e32 v48, v49
	;; [unrolled: 1-line block ×6, first 2 shown]
	v_cvt_f16_f32_e32 v7, v7
	v_cvt_f32_i32_e32 v29, v29
	v_cvt_f16_f32_e32 v39, v39
	v_cvt_f16_f32_e32 v9, v9
	v_cvt_f32_i32_e32 v27, v27
	v_cvt_f16_f32_e32 v32, v32
	v_cvt_f16_f32_e32 v41, v41
	;; [unrolled: 1-line block ×4, first 2 shown]
	v_cvt_f32_i32_e32 v43, v43
	v_cvt_f16_f32_e32 v34, v34
	v_cvt_f16_f32_e32 v44, v44
	v_pack_b32_f16 v11, v11, v12
	v_cvt_f16_f32_e32 v12, v37
	v_cvt_f16_f32_e32 v37, v47
	;; [unrolled: 1-line block ×3, first 2 shown]
	v_pack_b32_f16 v30, v30, v35
	v_pack_b32_f16 v8, v36, v8
	v_cvt_f16_f32_e32 v35, v40
	v_cvt_f16_f32_e32 v36, v48
	v_pack_b32_f16 v31, v31, v38
	v_cvt_f16_f32_e32 v47, v51
	v_cvt_f16_f32_e32 v26, v26
	;; [unrolled: 1-line block ×4, first 2 shown]
	v_pack_b32_f16 v7, v33, v7
	v_cvt_f16_f32_e32 v33, v46
	v_cvt_f16_f32_e32 v46, v49
	;; [unrolled: 1-line block ×3, first 2 shown]
	v_pack_b32_f16 v9, v39, v9
	v_cvt_f16_f32_e32 v38, v43
	v_cvt_f16_f32_e32 v39, v50
	v_pack_b32_f16 v32, v32, v41
	v_pack_b32_f16 v10, v42, v10
	;; [unrolled: 1-line block ×6, first 2 shown]
	v_pk_mul_f16 v11, v20, v11
	v_pk_mul_f16 v26, v18, v31
	v_pack_b32_f16 v41, v45, v29
	v_pack_b32_f16 v12, v12, v33
	;; [unrolled: 1-line block ×4, first 2 shown]
	v_pk_mul_f16 v30, v19, v30
	v_pk_mul_f16 v31, v21, v32
	;; [unrolled: 1-line block ×6, first 2 shown]
	v_and_b32_e32 v9, 0xffff, v11
	v_and_b32_e32 v10, 0xffff, v26
	v_lshrrev_b32_e32 v35, 16, v11
	v_lshrrev_b32_e32 v44, 16, v26
	v_pk_mul_f16 v45, v20, v34
	v_pk_mul_f16 v28, v18, v28
	v_pk_mul_f16 v29, v19, v12
	v_pk_mul_f16 v27, v21, v27
	v_and_b32_e32 v38, 0xffff, v7
	v_and_b32_e32 v39, 0xffff, v8
	v_lshrrev_b32_e32 v36, 16, v7
	v_lshrrev_b32_e32 v37, 16, v8
	v_pk_mul_f16 v11, v20, v41
	v_pk_mul_f16 v12, v19, v40
	;; [unrolled: 1-line block ×3, first 2 shown]
	v_lshl_or_b32 v7, v30, 16, v9
	v_lshl_or_b32 v8, v31, 16, v10
	v_and_or_b32 v9, 0xffff0000, v30, v35
	v_and_or_b32 v10, 0xffff0000, v31, v44
	v_and_b32_e32 v34, 0xffff, v45
	v_and_b32_e32 v35, 0xffff, v28
	v_lshrrev_b32_e32 v31, 16, v45
	v_lshrrev_b32_e32 v30, 16, v28
	v_pk_mul_f16 v28, v21, v42
	s_cbranch_vccnz .LBB0_24
; %bb.20:                               ;   in Loop: Header=BB0_8 Depth=1
	v_mov_b32_e32 v0, s16
	v_lshl_or_b32 v48, v32, 16, v38
	v_lshl_or_b32 v49, v33, 16, v39
	v_and_or_b32 v50, 0xffff0000, v32, v36
	v_and_or_b32 v51, 0xffff0000, v33, v37
	ds_read_b128 v[44:47], v0 offset:96
	ds_read_b128 v[0:3], v0 offset:112
	v_lshl_or_b32 v52, v29, 16, v34
	v_lshl_or_b32 v53, v27, 16, v35
	s_waitcnt lgkmcnt(1)
	v_mad_u64_u32 v[54:55], null, v44, s1, v[4:5]
	v_mad_u64_u32 v[44:45], null, v45, s1, v[4:5]
	;; [unrolled: 1-line block ×4, first 2 shown]
	v_ashrrev_i32_e32 v55, 31, v54
	s_waitcnt lgkmcnt(0)
	v_mad_u64_u32 v[58:59], null, v0, s1, v[4:5]
	v_ashrrev_i32_e32 v45, 31, v44
	v_ashrrev_i32_e32 v57, 31, v56
	v_lshlrev_b64 v[54:55], 1, v[54:55]
	v_mad_u64_u32 v[0:1], null, v1, s1, v[4:5]
	v_lshlrev_b64 v[44:45], 1, v[44:45]
	v_lshlrev_b64 v[56:57], 1, v[56:57]
	v_ashrrev_i32_e32 v47, 31, v46
	v_add_co_u32 v54, vcc_lo, s4, v54
	v_add_co_ci_u32_e64 v55, null, s5, v55, vcc_lo
	v_add_co_u32 v44, vcc_lo, s4, v44
	v_add_co_ci_u32_e64 v45, null, s5, v45, vcc_lo
	;; [unrolled: 2-line block ×3, first 2 shown]
	global_store_dwordx2 v[54:55], v[7:8], off
	global_store_dwordx2 v[44:45], v[9:10], off
	;; [unrolled: 1-line block ×3, first 2 shown]
	v_mad_u64_u32 v[44:45], null, v2, s1, v[4:5]
	v_ashrrev_i32_e32 v59, 31, v58
	v_ashrrev_i32_e32 v1, 31, v0
	v_lshlrev_b64 v[46:47], 1, v[46:47]
	v_pk_mul_f16 v2, v20, v41
	v_pk_mul_f16 v41, v18, v43
	v_lshlrev_b64 v[58:59], 1, v[58:59]
	v_ashrrev_i32_e32 v45, 31, v44
	v_lshlrev_b64 v[56:57], 1, v[0:1]
	v_add_co_u32 v46, vcc_lo, s4, v46
	v_pk_mul_f16 v1, v21, v42
	v_lshlrev_b64 v[42:43], 1, v[44:45]
	v_add_co_ci_u32_e64 v47, null, s5, v47, vcc_lo
	v_add_co_u32 v48, vcc_lo, s4, v58
	v_pk_mul_f16 v0, v19, v40
	v_and_b32_e32 v40, 0xffff, v2
	v_and_b32_e32 v58, 0xffff, v41
	v_add_co_ci_u32_e64 v49, null, s5, v59, vcc_lo
	v_add_co_u32 v44, vcc_lo, s4, v56
	v_add_co_ci_u32_e64 v45, null, s5, v57, vcc_lo
	v_add_co_u32 v42, vcc_lo, s4, v42
	v_lshl_or_b32 v56, v0, 16, v40
	v_lshl_or_b32 v57, v1, 16, v58
	v_add_co_ci_u32_e64 v43, null, s5, v43, vcc_lo
	v_and_or_b32 v54, 0xffff0000, v29, v31
	v_and_or_b32 v55, 0xffff0000, v27, v30
	global_store_dwordx2 v[46:47], v[50:51], off
	global_store_dwordx2 v[48:49], v[52:53], off
	;; [unrolled: 1-line block ×4, first 2 shown]
	s_cbranch_execnz .LBB0_7
	s_branch .LBB0_25
.LBB0_21:                               ;   in Loop: Header=BB0_8 Depth=1
                                        ; implicit-def: $vgpr3
                                        ; implicit-def: $vgpr1
                                        ; implicit-def: $vgpr47
                                        ; implicit-def: $vgpr0
                                        ; implicit-def: $vgpr46
	s_branch .LBB0_12
.LBB0_22:                               ;   in Loop: Header=BB0_8 Depth=1
                                        ; implicit-def: $vgpr3
                                        ; implicit-def: $vgpr1
                                        ; implicit-def: $vgpr47
                                        ; implicit-def: $vgpr0
                                        ; implicit-def: $vgpr46
	s_branch .LBB0_15
.LBB0_23:                               ;   in Loop: Header=BB0_8 Depth=1
                                        ; implicit-def: $vgpr3
                                        ; implicit-def: $vgpr1
                                        ; implicit-def: $vgpr47
                                        ; implicit-def: $vgpr0
                                        ; implicit-def: $vgpr46
	s_branch .LBB0_18
.LBB0_24:                               ;   in Loop: Header=BB0_8 Depth=1
                                        ; implicit-def: $vgpr3
                                        ; implicit-def: $vgpr1
                                        ; implicit-def: $vgpr41
                                        ; implicit-def: $vgpr0
                                        ; implicit-def: $vgpr2
.LBB0_25:                               ;   in Loop: Header=BB0_8 Depth=1
	v_add_nc_u32_e32 v0, s24, v13
	v_add_nc_u32_e32 v2, s23, v13
	;; [unrolled: 1-line block ×4, first 2 shown]
	v_lshl_or_b32 v38, v32, 16, v38
	v_ashrrev_i32_e32 v1, 31, v0
	v_ashrrev_i32_e32 v3, 31, v2
	;; [unrolled: 1-line block ×4, first 2 shown]
	v_lshl_or_b32 v39, v33, 16, v39
	v_lshlrev_b64 v[0:1], 1, v[0:1]
	v_lshlrev_b64 v[2:3], 1, v[2:3]
	;; [unrolled: 1-line block ×3, first 2 shown]
	v_lshl_or_b32 v34, v29, 16, v34
	v_lshl_or_b32 v35, v27, 16, v35
	v_and_or_b32 v29, 0xffff0000, v29, v31
	v_add_co_u32 v0, vcc_lo, s4, v0
	v_add_co_ci_u32_e64 v1, null, s5, v1, vcc_lo
	v_add_co_u32 v2, vcc_lo, s4, v2
	v_add_co_ci_u32_e64 v3, null, s5, v3, vcc_lo
	global_store_dwordx2 v[0:1], v[7:8], off
	global_store_dwordx2 v[2:3], v[9:10], off
	v_add_nc_u32_e32 v0, s19, v13
	v_lshlrev_b64 v[2:3], 1, v[42:43]
	v_add_co_u32 v40, vcc_lo, s4, v40
	v_add_nc_u32_e32 v9, s20, v13
	v_ashrrev_i32_e32 v1, 31, v0
	v_add_co_ci_u32_e64 v41, null, s5, v41, vcc_lo
	v_and_or_b32 v7, 0xffff0000, v32, v36
	v_add_co_u32 v32, vcc_lo, s4, v2
	v_lshlrev_b64 v[0:1], 1, v[0:1]
	v_add_nc_u32_e32 v2, s18, v13
	v_ashrrev_i32_e32 v10, 31, v9
	v_and_or_b32 v8, 0xffff0000, v33, v37
	v_add_co_ci_u32_e64 v33, null, s5, v3, vcc_lo
	v_ashrrev_i32_e32 v3, 31, v2
	v_add_co_u32 v36, vcc_lo, s4, v0
	v_add_co_ci_u32_e64 v37, null, s5, v1, vcc_lo
	v_lshlrev_b64 v[0:1], 1, v[9:10]
	v_lshlrev_b64 v[2:3], 1, v[2:3]
	v_and_or_b32 v30, 0xffff0000, v27, v30
	v_and_b32_e32 v27, 0xffff, v11
	v_and_b32_e32 v31, 0xffff, v26
	s_add_i32 s47, s14, 31
	v_add_co_u32 v9, vcc_lo, s4, v0
	v_add_co_ci_u32_e64 v10, null, s5, v1, vcc_lo
	v_add_co_u32 v42, vcc_lo, s4, v2
	global_store_dwordx2 v[40:41], v[38:39], off
	v_add_co_ci_u32_e64 v43, null, s5, v3, vcc_lo
	v_mov_b32_e32 v3, s47
	v_mov_b32_e32 v2, v11
	;; [unrolled: 1-line block ×5, first 2 shown]
	v_lshl_or_b32 v38, v12, 16, v27
	v_lshl_or_b32 v39, v28, 16, v31
	global_store_dwordx2 v[32:33], v[7:8], off
	global_store_dwordx2 v[36:37], v[34:35], off
	;; [unrolled: 1-line block ×4, first 2 shown]
	s_branch .LBB0_7
.LBB0_26:
	s_endpgm
	.section	.rodata,"a",@progbits
	.p2align	6, 0x0
	.amdhsa_kernel _ZN4vllm4gptq31reconstruct_exllama_8bit_kernelEPKjPKiS2_PK6__halfiiibPS5_
		.amdhsa_group_segment_fixed_size 512
		.amdhsa_private_segment_fixed_size 0
		.amdhsa_kernarg_size 56
		.amdhsa_user_sgpr_count 6
		.amdhsa_user_sgpr_private_segment_buffer 1
		.amdhsa_user_sgpr_dispatch_ptr 0
		.amdhsa_user_sgpr_queue_ptr 0
		.amdhsa_user_sgpr_kernarg_segment_ptr 1
		.amdhsa_user_sgpr_dispatch_id 0
		.amdhsa_user_sgpr_flat_scratch_init 0
		.amdhsa_user_sgpr_private_segment_size 0
		.amdhsa_wavefront_size32 1
		.amdhsa_uses_dynamic_stack 0
		.amdhsa_system_sgpr_private_segment_wavefront_offset 0
		.amdhsa_system_sgpr_workgroup_id_x 1
		.amdhsa_system_sgpr_workgroup_id_y 1
		.amdhsa_system_sgpr_workgroup_id_z 0
		.amdhsa_system_sgpr_workgroup_info 0
		.amdhsa_system_vgpr_workitem_id 0
		.amdhsa_next_free_vgpr 60
		.amdhsa_next_free_sgpr 49
		.amdhsa_reserve_vcc 1
		.amdhsa_reserve_flat_scratch 0
		.amdhsa_float_round_mode_32 0
		.amdhsa_float_round_mode_16_64 0
		.amdhsa_float_denorm_mode_32 3
		.amdhsa_float_denorm_mode_16_64 3
		.amdhsa_dx10_clamp 1
		.amdhsa_ieee_mode 1
		.amdhsa_fp16_overflow 0
		.amdhsa_workgroup_processor_mode 1
		.amdhsa_memory_ordered 1
		.amdhsa_forward_progress 1
		.amdhsa_shared_vgpr_count 0
		.amdhsa_exception_fp_ieee_invalid_op 0
		.amdhsa_exception_fp_denorm_src 0
		.amdhsa_exception_fp_ieee_div_zero 0
		.amdhsa_exception_fp_ieee_overflow 0
		.amdhsa_exception_fp_ieee_underflow 0
		.amdhsa_exception_fp_ieee_inexact 0
		.amdhsa_exception_int_div_zero 0
	.end_amdhsa_kernel
	.text
.Lfunc_end0:
	.size	_ZN4vllm4gptq31reconstruct_exllama_8bit_kernelEPKjPKiS2_PK6__halfiiibPS5_, .Lfunc_end0-_ZN4vllm4gptq31reconstruct_exllama_8bit_kernelEPKjPKiS2_PK6__halfiiibPS5_
                                        ; -- End function
	.set _ZN4vllm4gptq31reconstruct_exllama_8bit_kernelEPKjPKiS2_PK6__halfiiibPS5_.num_vgpr, 60
	.set _ZN4vllm4gptq31reconstruct_exllama_8bit_kernelEPKjPKiS2_PK6__halfiiibPS5_.num_agpr, 0
	.set _ZN4vllm4gptq31reconstruct_exllama_8bit_kernelEPKjPKiS2_PK6__halfiiibPS5_.numbered_sgpr, 49
	.set _ZN4vllm4gptq31reconstruct_exllama_8bit_kernelEPKjPKiS2_PK6__halfiiibPS5_.num_named_barrier, 0
	.set _ZN4vllm4gptq31reconstruct_exllama_8bit_kernelEPKjPKiS2_PK6__halfiiibPS5_.private_seg_size, 0
	.set _ZN4vllm4gptq31reconstruct_exllama_8bit_kernelEPKjPKiS2_PK6__halfiiibPS5_.uses_vcc, 1
	.set _ZN4vllm4gptq31reconstruct_exllama_8bit_kernelEPKjPKiS2_PK6__halfiiibPS5_.uses_flat_scratch, 0
	.set _ZN4vllm4gptq31reconstruct_exllama_8bit_kernelEPKjPKiS2_PK6__halfiiibPS5_.has_dyn_sized_stack, 0
	.set _ZN4vllm4gptq31reconstruct_exllama_8bit_kernelEPKjPKiS2_PK6__halfiiibPS5_.has_recursion, 0
	.set _ZN4vllm4gptq31reconstruct_exllama_8bit_kernelEPKjPKiS2_PK6__halfiiibPS5_.has_indirect_call, 0
	.section	.AMDGPU.csdata,"",@progbits
; Kernel info:
; codeLenInByte = 9080
; TotalNumSgprs: 51
; NumVgprs: 60
; ScratchSize: 0
; MemoryBound: 0
; FloatMode: 240
; IeeeMode: 1
; LDSByteSize: 512 bytes/workgroup (compile time only)
; SGPRBlocks: 0
; VGPRBlocks: 7
; NumSGPRsForWavesPerEU: 51
; NumVGPRsForWavesPerEU: 60
; Occupancy: 16
; WaveLimiterHint : 0
; COMPUTE_PGM_RSRC2:SCRATCH_EN: 0
; COMPUTE_PGM_RSRC2:USER_SGPR: 6
; COMPUTE_PGM_RSRC2:TRAP_HANDLER: 0
; COMPUTE_PGM_RSRC2:TGID_X_EN: 1
; COMPUTE_PGM_RSRC2:TGID_Y_EN: 1
; COMPUTE_PGM_RSRC2:TGID_Z_EN: 0
; COMPUTE_PGM_RSRC2:TIDIG_COMP_CNT: 0
	.text
	.protected	_ZN4vllm4gptq31reconstruct_exllama_4bit_kernelEPKjPKiS2_PK6__halfiiibPS5_ ; -- Begin function _ZN4vllm4gptq31reconstruct_exllama_4bit_kernelEPKjPKiS2_PK6__halfiiibPS5_
	.globl	_ZN4vllm4gptq31reconstruct_exllama_4bit_kernelEPKjPKiS2_PK6__halfiiibPS5_
	.p2align	8
	.type	_ZN4vllm4gptq31reconstruct_exllama_4bit_kernelEPKjPKiS2_PK6__halfiiibPS5_,@function
_ZN4vllm4gptq31reconstruct_exllama_4bit_kernelEPKjPKiS2_PK6__halfiiibPS5_: ; @_ZN4vllm4gptq31reconstruct_exllama_4bit_kernelEPKjPKiS2_PK6__halfiiibPS5_
; %bb.0:
	s_clause 0x1
	s_load_dwordx2 s[8:9], s[4:5], 0x8
	s_load_dwordx4 s[0:3], s[4:5], 0x20
	s_lshl_b32 s14, s7, 7
	s_waitcnt lgkmcnt(0)
	s_cmp_lg_u64 s[8:9], 0
	s_cselect_b32 s15, -1, 0
	s_cmp_eq_u64 s[8:9], 0
	s_cbranch_scc1 .LBB1_4
; %bb.1:
	v_add_nc_u32_e32 v1, s14, v0
	s_mov_b32 s10, exec_lo
	v_cmpx_gt_u32_e64 s0, v1
	s_cbranch_execz .LBB1_3
; %bb.2:
	v_mov_b32_e32 v2, 0
	v_lshlrev_b64 v[1:2], 2, v[1:2]
	v_add_co_u32 v1, vcc_lo, s8, v1
	v_add_co_ci_u32_e64 v2, null, s9, v2, vcc_lo
	global_load_dword v1, v[1:2], off
	v_lshlrev_b32_e32 v2, 2, v0
	s_waitcnt vmcnt(0)
	ds_write_b32 v2, v1
.LBB1_3:
	s_or_b32 exec_lo, exec_lo, s10
.LBB1_4:
	v_lshlrev_b32_e32 v13, 2, v0
	s_lshl_b32 s47, s6, 9
	s_mov_b32 s6, exec_lo
	v_add_nc_u32_e32 v4, s47, v13
	v_cmpx_gt_i32_e64 s1, v4
	s_cbranch_execz .LBB1_26
; %bb.5:
	s_abs_i32 s6, s2
	s_add_i32 s8, s14, 0x80
	v_cvt_f32_u32_e32 v1, s6
	v_cvt_f64_i32_e32 v[5:6], s0
	s_sub_i32 s9, 0, s6
	s_abs_i32 s10, s0
	s_xor_b32 s0, s0, s2
	v_rcp_iflag_f32_e32 v3, v1
	v_cvt_f64_u32_e32 v[1:2], s8
	s_ashr_i32 s0, s0, 31
	s_mov_b32 s16, 0
	s_waitcnt lgkmcnt(0)
	s_barrier
	buffer_gl0_inv
	v_mul_f32_e32 v3, 0x4f7ffffe, v3
	v_cvt_u32_f32_e32 v3, v3
	v_readfirstlane_b32 s8, v3
	v_min_f64 v[1:2], v[1:2], v[5:6]
	s_mul_i32 s9, s9, s8
	s_mul_hi_u32 s9, s8, s9
	s_add_i32 s8, s8, s9
	s_mul_hi_u32 s8, s10, s8
	s_mul_i32 s2, s8, s6
	s_add_i32 s9, s8, 1
	s_sub_i32 s2, s10, s2
	s_sub_i32 s10, s2, s6
	s_cmp_ge_u32 s2, s6
	s_cselect_b32 s8, s9, s8
	s_cselect_b32 s2, s10, s2
	s_add_i32 s9, s8, 1
	s_cmp_ge_u32 s2, s6
	v_cvt_i32_f64_e32 v14, v[1:2]
	s_cselect_b32 s2, s9, s8
	s_xor_b32 s2, s2, s0
	s_sub_i32 s0, s2, s0
	v_cvt_f32_u32_e32 v1, s0
	v_rcp_iflag_f32_e32 v1, v1
	v_mul_f32_e32 v1, 0x4f7ffffe, v1
	v_cmp_ge_i32_e32 vcc_lo, s14, v14
	v_cvt_u32_f32_e32 v1, v1
	v_readfirstlane_b32 s2, v1
	s_cbranch_vccnz .LBB1_26
; %bb.6:
	s_sub_i32 s6, 0, s0
	v_ashrrev_i32_e32 v5, 31, v4
	s_mul_i32 s6, s6, s2
	v_lshlrev_b32_e32 v0, 4, v0
	s_mul_hi_u32 s6, s2, s6
	v_mov_b32_e32 v16, 0x10001
	s_add_i32 s2, s2, s6
	v_lshrrev_b32_e32 v1, 29, v5
	s_mul_hi_u32 s2, s14, s2
	v_and_b32_e32 v17, 16, v0
	s_mul_i32 s6, s2, s0
	s_add_i32 s8, s2, 1
	s_sub_i32 s6, s14, s6
	v_add_nc_u32_e32 v1, v4, v1
	s_sub_i32 s9, s6, s0
	s_cmp_ge_u32 s6, s0
	s_mul_i32 s20, s7, s1
	s_cselect_b32 s2, s8, s2
	s_cselect_b32 s6, s9, s6
	s_add_i32 s8, s2, 1
	s_cmp_ge_u32 s6, s0
	v_ashrrev_i32_e32 v15, 3, v1
	s_cselect_b32 s17, s8, s2
	s_load_dwordx4 s[8:11], s[4:5], 0x10
	s_mul_i32 s2, s17, s1
	s_mov_b32 s18, 0xe400e400
	s_ashr_i32 s6, s2, 31
	v_add_nc_u32_e32 v6, s2, v4
	s_lshr_b32 s6, s6, 29
	s_add_i32 s6, s2, s6
	v_ashrrev_i32_e32 v7, 31, v6
	s_ashr_i32 s6, s6, 3
	s_bitcmp1_b32 s3, 0
	v_add_nc_u32_e32 v1, s6, v15
	s_cselect_b32 s19, -1, 0
	v_lshlrev_b64 v[6:7], 1, v[6:7]
	s_xor_b32 s7, s19, -1
	s_lshr_b32 s2, s14, 3
	v_ashrrev_i32_e32 v2, 31, v1
	v_cndmask_b32_e64 v18, 0, 1, s7
	s_mul_i32 s2, s1, s2
	s_mov_b32 s6, s1
	s_ashr_i32 s3, s2, 31
	v_lshlrev_b64 v[1:2], 2, v[1:2]
	s_lshl_b64 s[2:3], s[2:3], 2
	s_waitcnt lgkmcnt(0)
	v_add_co_u32 v1, vcc_lo, s8, v1
	v_add_co_ci_u32_e64 v2, null, s9, v2, vcc_lo
	v_add_co_u32 v6, vcc_lo, s10, v6
	v_add_co_ci_u32_e64 v7, null, s11, v7, vcc_lo
	global_load_dword v3, v[1:2], off
	global_load_dwordx2 v[1:2], v[6:7], off
	s_clause 0x1
	s_load_dwordx2 s[12:13], s[4:5], 0x0
	s_load_dwordx2 s[4:5], s[4:5], 0x30
	v_lshlrev_b64 v[5:6], 2, v[4:5]
	s_waitcnt lgkmcnt(0)
	s_add_u32 s2, s12, s2
	s_addc_u32 s3, s13, s3
	v_add_co_u32 v5, vcc_lo, s2, v5
	s_add_i32 s19, s14, 30
	s_add_i32 s21, s14, 28
	;; [unrolled: 1-line block ×27, first 2 shown]
	v_add_co_ci_u32_e64 v6, null, s3, v6, vcc_lo
	s_ashr_i32 s7, s1, 31
	s_lshl_b32 s20, s20, 7
	s_mul_i32 s49, s1, s19
	s_mul_i32 s21, s1, s21
	;; [unrolled: 1-line block ×27, first 2 shown]
	s_add_i32 s12, s0, s14
	s_lshl_b32 s13, s1, 5
	s_lshl_b64 s[2:3], s[6:7], 4
	s_add_i32 s19, s20, s47
	s_add_i32 s20, s49, s47
	;; [unrolled: 1-line block ×28, first 2 shown]
	s_lshl_b64 s[6:7], s[6:7], 2
	s_mov_b32 s48, 0xf000f
	s_mov_b32 s49, 0xf000f0
	s_waitcnt vmcnt(1)
	v_lshrrev_b32_e32 v0, v0, v3
	s_waitcnt vmcnt(0)
	v_mul_u32_u24_sdwa v22, v2, v16 dst_sel:DWORD dst_unused:UNUSED_PAD src0_sel:WORD_1 src1_sel:DWORD
	v_mul_u32_u24_sdwa v19, v2, v16 dst_sel:DWORD dst_unused:UNUSED_PAD src0_sel:WORD_0 src1_sel:DWORD
	v_bfe_u32 v2, v3, v17, 4
	v_mul_u32_u24_sdwa v20, v1, v16 dst_sel:DWORD dst_unused:UNUSED_PAD src0_sel:WORD_1 src1_sel:DWORD
	v_bfe_u32 v3, v0, 12, 4
	v_bfe_u32 v7, v0, 8, 4
	;; [unrolled: 1-line block ×3, first 2 shown]
	v_add_nc_u32_e32 v2, v2, v18
	v_mul_u32_u24_sdwa v21, v1, v16 dst_sel:DWORD dst_unused:UNUSED_PAD src0_sel:WORD_0 src1_sel:DWORD
	v_add_nc_u32_e32 v1, v3, v18
	v_add_nc_u32_e32 v3, v7, v18
	;; [unrolled: 1-line block ×3, first 2 shown]
	v_cvt_f32_ubyte0_e32 v7, v2
	v_mad_u32_u24 v23, 0x10001, v2, s18
	v_cvt_f32_ubyte0_e32 v2, v1
	v_cvt_f32_ubyte0_e32 v8, v3
	;; [unrolled: 1-line block ×3, first 2 shown]
	v_mad_u32_u24 v25, 0x10001, v1, s18
	v_cvt_f16_f32_e32 v1, v7
	v_cvt_f16_f32_e32 v2, v2
	;; [unrolled: 1-line block ×4, first 2 shown]
	v_mad_u32_u24 v24, 0x10001, v3, s18
	v_sub_f16_e32 v1, 0xd400, v1
	v_sub_f16_e32 v2, 0xd400, v2
	;; [unrolled: 1-line block ×4, first 2 shown]
	v_mad_u32_u24 v26, 0x10001, v0, s18
	v_mul_u32_u24_sdwa v27, v1, v16 dst_sel:DWORD dst_unused:UNUSED_PAD src0_sel:WORD_0 src1_sel:DWORD
	v_mul_u32_u24_sdwa v30, v2, v16 dst_sel:DWORD dst_unused:UNUSED_PAD src0_sel:WORD_0 src1_sel:DWORD
	;; [unrolled: 1-line block ×4, first 2 shown]
	s_branch .LBB1_8
.LBB1_7:                                ;   in Loop: Header=BB1_8 Depth=1
	v_mad_u64_u32 v[2:3], null, v3, s1, v[4:5]
	v_add_co_u32 v5, vcc_lo, v5, s2
	v_lshrrev_b32_e32 v7, 16, v45
	v_lshrrev_b32_e32 v8, 16, v46
	s_add_i32 s14, s14, 32
	v_add_co_ci_u32_e64 v6, null, s3, v6, vcc_lo
	v_ashrrev_i32_e32 v3, 31, v2
	v_and_or_b32 v0, 0xffff0000, v0, v7
	v_and_or_b32 v1, 0xffff0000, v1, v8
	s_addk_i32 s16, 0x80
	s_add_i32 s20, s20, s13
	v_lshlrev_b64 v[2:3], 1, v[2:3]
	s_add_i32 s21, s21, s13
	s_add_i32 s22, s22, s13
	;; [unrolled: 1-line block ×5, first 2 shown]
	v_add_co_u32 v2, vcc_lo, s4, v2
	v_add_co_ci_u32_e64 v3, null, s5, v3, vcc_lo
	v_cmp_lt_i32_e32 vcc_lo, s14, v14
	s_add_i32 s26, s26, s13
	s_add_i32 s27, s27, s13
	;; [unrolled: 1-line block ×22, first 2 shown]
	global_store_dwordx2 v[2:3], v[0:1], off
	s_cbranch_vccz .LBB1_26
.LBB1_8:                                ; =>This Inner Loop Header: Depth=1
	s_cmp_lg_u32 s14, s12
	s_cbranch_scc1 .LBB1_10
; %bb.9:                                ;   in Loop: Header=BB1_8 Depth=1
	s_add_i32 s17, s17, 1
	s_add_i32 s12, s12, s0
	s_mul_i32 s50, s17, s1
	s_ashr_i32 s51, s50, 31
	v_add_nc_u32_e32 v2, s50, v4
	s_lshr_b32 s51, s51, 29
	s_add_i32 s51, s50, s51
	v_ashrrev_i32_e32 v3, 31, v2
	s_ashr_i32 s51, s51, 3
	v_add_nc_u32_e32 v0, s51, v15
	v_lshlrev_b64 v[2:3], 1, v[2:3]
	v_ashrrev_i32_e32 v1, 31, v0
	v_lshlrev_b64 v[0:1], 2, v[0:1]
	v_add_co_u32 v0, vcc_lo, s8, v0
	v_add_co_ci_u32_e64 v1, null, s9, v1, vcc_lo
	v_add_co_u32 v2, vcc_lo, s10, v2
	v_add_co_ci_u32_e64 v3, null, s11, v3, vcc_lo
	global_load_dword v7, v[0:1], off
	global_load_dwordx2 v[0:1], v[2:3], off
	s_waitcnt vmcnt(1)
	v_lshrrev_b32_e32 v2, v17, v7
	s_waitcnt vmcnt(0)
	v_mul_u32_u24_sdwa v21, v0, v16 dst_sel:DWORD dst_unused:UNUSED_PAD src0_sel:WORD_0 src1_sel:DWORD
	v_mul_u32_u24_sdwa v20, v0, v16 dst_sel:DWORD dst_unused:UNUSED_PAD src0_sel:WORD_1 src1_sel:DWORD
	v_bfe_u32 v0, v7, v17, 4
	v_mul_u32_u24_sdwa v19, v1, v16 dst_sel:DWORD dst_unused:UNUSED_PAD src0_sel:WORD_0 src1_sel:DWORD
	v_bfe_u32 v3, v2, 4, 4
	v_bfe_u32 v7, v2, 8, 4
	;; [unrolled: 1-line block ×3, first 2 shown]
	v_add_nc_u32_e32 v0, v0, v18
	v_mul_u32_u24_sdwa v22, v1, v16 dst_sel:DWORD dst_unused:UNUSED_PAD src0_sel:WORD_1 src1_sel:DWORD
	v_add_nc_u32_e32 v1, v3, v18
	v_add_nc_u32_e32 v3, v7, v18
	;; [unrolled: 1-line block ×3, first 2 shown]
	v_cvt_f32_ubyte0_e32 v7, v0
	v_mad_u32_u24 v23, 0x10001, v0, s18
	v_cvt_f32_ubyte0_e32 v0, v1
	v_cvt_f32_ubyte0_e32 v8, v3
	;; [unrolled: 1-line block ×3, first 2 shown]
	v_cvt_f16_f32_e32 v7, v7
	v_mad_u32_u24 v26, 0x10001, v1, s18
	v_cvt_f16_f32_e32 v0, v0
	v_cvt_f16_f32_e32 v1, v8
	;; [unrolled: 1-line block ×3, first 2 shown]
	v_mad_u32_u24 v24, 0x10001, v3, s18
	v_sub_f16_e32 v3, 0xd400, v7
	v_sub_f16_e32 v0, 0xd400, v0
	;; [unrolled: 1-line block ×4, first 2 shown]
	v_mad_u32_u24 v25, 0x10001, v2, s18
	v_mul_u32_u24_sdwa v27, v3, v16 dst_sel:DWORD dst_unused:UNUSED_PAD src0_sel:WORD_0 src1_sel:DWORD
	v_mul_u32_u24_sdwa v28, v0, v16 dst_sel:DWORD dst_unused:UNUSED_PAD src0_sel:WORD_0 src1_sel:DWORD
	;; [unrolled: 1-line block ×4, first 2 shown]
.LBB1_10:                               ;   in Loop: Header=BB1_8 Depth=1
	global_load_dwordx4 v[0:3], v[5:6], off
	s_andn2_b32 vcc_lo, exec_lo, s15
	s_waitcnt vmcnt(0)
	v_and_or_b32 v7, v0, s48, 0x64006400
	v_and_or_b32 v8, v0, s49, 0x64006400
	v_lshrrev_b32_e32 v0, 8, v0
	v_and_or_b32 v9, v1, s48, 0x64006400
	v_and_or_b32 v10, v1, s49, 0x64006400
	v_lshrrev_b32_e32 v1, 8, v1
	;; [unrolled: 3-line block ×4, first 2 shown]
	v_and_or_b32 v33, v0, s48, 0x64006400
	v_and_or_b32 v0, v0, s49, 0x64006400
	v_pk_add_f16 v7, v23, v7
	v_and_or_b32 v34, v1, s48, 0x64006400
	v_and_or_b32 v1, v1, s49, 0x64006400
	v_and_or_b32 v35, v2, s48, 0x64006400
	v_pk_add_f16 v11, v24, v11
	v_and_or_b32 v36, v3, s48, 0x64006400
	v_and_or_b32 v3, v3, s49, 0x64006400
	v_pk_fma_f16 v8, 0x2c00, v8, v27 op_sel_hi:[0,1,1]
	v_pk_add_f16 v9, v26, v9
	v_pk_fma_f16 v10, 0x2c00, v10, v28 op_sel_hi:[0,1,1]
	v_and_or_b32 v2, v2, s49, 0x64006400
	v_pk_fma_f16 v12, 0x2c00, v12, v29 op_sel_hi:[0,1,1]
	v_pk_add_f16 v31, v25, v31
	v_pk_add_f16 v33, v23, v33
	v_pk_fma_f16 v45, 0x2c00, v0, v27 op_sel_hi:[0,1,1]
	v_pk_add_f16 v0, v26, v34
	v_pk_fma_f16 v46, 0x2c00, v1, v28 op_sel_hi:[0,1,1]
	;; [unrolled: 2-line block ×3, first 2 shown]
	v_pk_mul_f16 v3, v21, v7
	v_pk_mul_f16 v7, v19, v11
	v_pk_fma_f16 v32, 0x2c00, v32, v30 op_sel_hi:[0,1,1]
	v_pk_fma_f16 v47, 0x2c00, v2, v29 op_sel_hi:[0,1,1]
	v_pk_add_f16 v2, v25, v36
	v_pk_mul_f16 v9, v20, v9
	v_pk_mul_f16 v35, v22, v31
	;; [unrolled: 1-line block ×5, first 2 shown]
	v_and_b32_e32 v36, 0xffff, v3
	v_and_b32_e32 v39, 0xffff, v7
	v_lshrrev_b32_e32 v3, 16, v3
	v_lshrrev_b32_e32 v40, 16, v7
	v_pk_mul_f16 v33, v21, v33
	v_pk_mul_f16 v34, v20, v0
	;; [unrolled: 1-line block ×5, first 2 shown]
	v_and_b32_e32 v43, 0xffff, v8
	v_and_b32_e32 v44, 0xffff, v10
	v_lshrrev_b32_e32 v41, 16, v8
	v_lshrrev_b32_e32 v42, 16, v10
	v_pk_mul_f16 v11, v21, v45
	v_pk_mul_f16 v12, v20, v46
	;; [unrolled: 1-line block ×3, first 2 shown]
	v_lshl_or_b32 v7, v9, 16, v36
	v_lshl_or_b32 v8, v35, 16, v39
	v_and_or_b32 v9, 0xffff0000, v9, v3
	v_and_or_b32 v10, 0xffff0000, v35, v40
	v_and_b32_e32 v39, 0xffff, v33
	v_and_b32_e32 v40, 0xffff, v0
	v_lshrrev_b32_e32 v36, 16, v33
	v_lshrrev_b32_e32 v35, 16, v0
	v_pk_mul_f16 v33, v22, v48
	s_cbranch_vccnz .LBB1_21
; %bb.11:                               ;   in Loop: Header=BB1_8 Depth=1
	v_mov_b32_e32 v0, s16
	v_pk_mul_f16 v45, v21, v45
	ds_read_b128 v[49:52], v0
	ds_read_b128 v[0:3], v0 offset:16
	s_waitcnt lgkmcnt(1)
	v_mad_u64_u32 v[53:54], null, v49, s1, v[4:5]
	v_mad_u64_u32 v[49:50], null, v50, s1, v[4:5]
	v_ashrrev_i32_e32 v54, 31, v53
	v_ashrrev_i32_e32 v50, 31, v49
	v_lshlrev_b64 v[53:54], 1, v[53:54]
	v_lshlrev_b64 v[49:50], 1, v[49:50]
	v_add_co_u32 v53, vcc_lo, s4, v53
	v_add_co_ci_u32_e64 v54, null, s5, v54, vcc_lo
	v_add_co_u32 v49, vcc_lo, s4, v49
	v_add_co_ci_u32_e64 v50, null, s5, v50, vcc_lo
	global_store_dwordx2 v[53:54], v[7:8], off
	v_mad_u64_u32 v[53:54], null, v51, s1, v[4:5]
	v_mad_u64_u32 v[51:52], null, v52, s1, v[4:5]
	global_store_dwordx2 v[49:50], v[9:10], off
	v_lshl_or_b32 v49, v37, 16, v43
	v_lshl_or_b32 v50, v38, 16, v44
	v_ashrrev_i32_e32 v54, 31, v53
	v_ashrrev_i32_e32 v52, 31, v51
	v_lshlrev_b64 v[53:54], 1, v[53:54]
	v_lshlrev_b64 v[51:52], 1, v[51:52]
	v_add_co_u32 v53, vcc_lo, s4, v53
	v_add_co_ci_u32_e64 v54, null, s5, v54, vcc_lo
	v_add_co_u32 v51, vcc_lo, s4, v51
	v_add_co_ci_u32_e64 v52, null, s5, v52, vcc_lo
	global_store_dwordx2 v[53:54], v[49:50], off
	v_and_or_b32 v49, 0xffff0000, v37, v41
	v_and_or_b32 v50, 0xffff0000, v38, v42
	global_store_dwordx2 v[51:52], v[49:50], off
	s_waitcnt lgkmcnt(0)
	v_mad_u64_u32 v[51:52], null, v0, s1, v[4:5]
	v_mad_u64_u32 v[0:1], null, v1, s1, v[4:5]
	v_lshl_or_b32 v49, v34, 16, v39
	v_lshl_or_b32 v50, v32, 16, v40
	v_ashrrev_i32_e32 v52, 31, v51
	v_ashrrev_i32_e32 v1, 31, v0
	v_lshlrev_b64 v[51:52], 1, v[51:52]
	v_lshlrev_b64 v[0:1], 1, v[0:1]
	v_add_co_u32 v51, vcc_lo, s4, v51
	v_add_co_ci_u32_e64 v52, null, s5, v52, vcc_lo
	v_add_co_u32 v0, vcc_lo, s4, v0
	v_add_co_ci_u32_e64 v1, null, s5, v1, vcc_lo
	global_store_dwordx2 v[51:52], v[49:50], off
	v_and_or_b32 v49, 0xffff0000, v34, v36
	v_and_or_b32 v50, 0xffff0000, v32, v35
	global_store_dwordx2 v[0:1], v[49:50], off
	v_mad_u64_u32 v[49:50], null, v2, s1, v[4:5]
	v_pk_mul_f16 v0, v20, v46
	v_pk_mul_f16 v46, v19, v47
	v_pk_mul_f16 v1, v22, v48
	v_and_b32_e32 v47, 0xffff, v45
	v_ashrrev_i32_e32 v50, 31, v49
	v_and_b32_e32 v48, 0xffff, v46
	v_lshl_or_b32 v47, v0, 16, v47
	v_lshlrev_b64 v[49:50], 1, v[49:50]
	v_lshl_or_b32 v48, v1, 16, v48
	v_add_co_u32 v49, vcc_lo, s4, v49
	v_add_co_ci_u32_e64 v50, null, s5, v50, vcc_lo
	global_store_dwordx2 v[49:50], v[47:48], off
	s_cbranch_execnz .LBB1_13
.LBB1_12:                               ;   in Loop: Header=BB1_8 Depth=1
	v_add_nc_u32_e32 v0, s19, v13
	v_add_nc_u32_e32 v2, s47, v13
	;; [unrolled: 1-line block ×4, first 2 shown]
	v_lshl_or_b32 v43, v37, 16, v43
	v_ashrrev_i32_e32 v1, 31, v0
	v_ashrrev_i32_e32 v3, 31, v2
	v_ashrrev_i32_e32 v46, 31, v45
	v_ashrrev_i32_e32 v48, 31, v47
	v_lshl_or_b32 v44, v38, 16, v44
	v_lshlrev_b64 v[0:1], 1, v[0:1]
	v_lshlrev_b64 v[2:3], 1, v[2:3]
	;; [unrolled: 1-line block ×3, first 2 shown]
	v_lshl_or_b32 v39, v34, 16, v39
	v_lshl_or_b32 v40, v32, 16, v40
	v_and_or_b32 v34, 0xffff0000, v34, v36
	v_add_co_u32 v0, vcc_lo, s4, v0
	v_add_co_ci_u32_e64 v1, null, s5, v1, vcc_lo
	v_add_co_u32 v2, vcc_lo, s4, v2
	v_add_co_ci_u32_e64 v3, null, s5, v3, vcc_lo
	global_store_dwordx2 v[0:1], v[7:8], off
	global_store_dwordx2 v[2:3], v[9:10], off
	v_add_nc_u32_e32 v0, s43, v13
	v_lshlrev_b64 v[2:3], 1, v[47:48]
	v_add_co_u32 v45, vcc_lo, s4, v45
	v_add_nc_u32_e32 v9, s44, v13
	v_ashrrev_i32_e32 v1, 31, v0
	v_add_co_ci_u32_e64 v46, null, s5, v46, vcc_lo
	v_and_or_b32 v7, 0xffff0000, v37, v41
	v_add_co_u32 v37, vcc_lo, s4, v2
	v_lshlrev_b64 v[0:1], 1, v[0:1]
	v_add_nc_u32_e32 v2, s42, v13
	v_ashrrev_i32_e32 v10, 31, v9
	v_and_or_b32 v8, 0xffff0000, v38, v42
	v_add_co_ci_u32_e64 v38, null, s5, v3, vcc_lo
	v_ashrrev_i32_e32 v3, 31, v2
	v_add_co_u32 v41, vcc_lo, s4, v0
	v_add_co_ci_u32_e64 v42, null, s5, v1, vcc_lo
	v_lshlrev_b64 v[0:1], 1, v[9:10]
	v_lshlrev_b64 v[2:3], 1, v[2:3]
	v_and_or_b32 v35, 0xffff0000, v32, v35
	v_and_b32_e32 v32, 0xffff, v11
	v_and_b32_e32 v36, 0xffff, v31
	s_add_i32 s50, s14, 7
	v_add_co_u32 v9, vcc_lo, s4, v0
	v_add_co_ci_u32_e64 v10, null, s5, v1, vcc_lo
	v_add_co_u32 v47, vcc_lo, s4, v2
	global_store_dwordx2 v[45:46], v[43:44], off
	v_add_co_ci_u32_e64 v48, null, s5, v3, vcc_lo
	v_mov_b32_e32 v3, s50
	v_mov_b32_e32 v45, v11
	;; [unrolled: 1-line block ×5, first 2 shown]
	v_lshl_or_b32 v43, v12, 16, v32
	v_lshl_or_b32 v44, v33, 16, v36
	global_store_dwordx2 v[37:38], v[7:8], off
	global_store_dwordx2 v[41:42], v[39:40], off
	;; [unrolled: 1-line block ×4, first 2 shown]
.LBB1_13:                               ;   in Loop: Header=BB1_8 Depth=1
	v_add_co_u32 v7, vcc_lo, v5, s6
	v_add_co_ci_u32_e64 v8, null, s7, v6, vcc_lo
	v_lshrrev_b32_e32 v31, 16, v45
	v_lshrrev_b32_e32 v32, 16, v46
	v_mad_u64_u32 v[2:3], null, v3, s1, v[4:5]
	global_load_dwordx4 v[9:12], v[7:8], off
	v_and_or_b32 v0, 0xffff0000, v0, v31
	v_and_or_b32 v1, 0xffff0000, v1, v32
	v_ashrrev_i32_e32 v3, 31, v2
	v_lshlrev_b64 v[2:3], 1, v[2:3]
	v_add_co_u32 v2, vcc_lo, s4, v2
	v_add_co_ci_u32_e64 v3, null, s5, v3, vcc_lo
	s_andn2_b32 vcc_lo, exec_lo, s15
	global_store_dwordx2 v[2:3], v[0:1], off
	s_waitcnt vmcnt(0)
	v_and_or_b32 v31, v9, s48, 0x64006400
	v_and_or_b32 v32, v9, s49, 0x64006400
	v_lshrrev_b32_e32 v9, 8, v9
	v_and_or_b32 v33, v10, s48, 0x64006400
	v_and_or_b32 v34, v10, s49, 0x64006400
	v_lshrrev_b32_e32 v10, 8, v10
	;; [unrolled: 3-line block ×4, first 2 shown]
	v_and_or_b32 v39, v9, s48, 0x64006400
	v_pk_add_f16 v31, v23, v31
	v_and_or_b32 v40, v10, s48, 0x64006400
	v_and_or_b32 v10, v10, s49, 0x64006400
	;; [unrolled: 1-line block ×3, first 2 shown]
	v_pk_add_f16 v35, v24, v35
	v_and_or_b32 v42, v12, s48, 0x64006400
	v_and_or_b32 v12, v12, s49, 0x64006400
	;; [unrolled: 1-line block ×3, first 2 shown]
	v_pk_fma_f16 v32, 0x2c00, v32, v27 op_sel_hi:[0,1,1]
	v_pk_add_f16 v33, v26, v33
	v_and_or_b32 v11, v11, s49, 0x64006400
	v_pk_fma_f16 v36, 0x2c00, v36, v29 op_sel_hi:[0,1,1]
	v_pk_add_f16 v37, v25, v37
	v_pk_fma_f16 v38, 0x2c00, v38, v30 op_sel_hi:[0,1,1]
	v_pk_add_f16 v43, v23, v39
	;; [unrolled: 2-line block ×3, first 2 shown]
	v_pk_fma_f16 v50, 0x2c00, v12, v30 op_sel_hi:[0,1,1]
	v_pk_mul_f16 v12, v21, v31
	v_pk_mul_f16 v31, v19, v35
	v_pk_fma_f16 v34, 0x2c00, v34, v28 op_sel_hi:[0,1,1]
	v_pk_fma_f16 v47, 0x2c00, v9, v27 op_sel_hi:[0,1,1]
	v_pk_add_f16 v9, v26, v40
	v_pk_fma_f16 v49, 0x2c00, v11, v29 op_sel_hi:[0,1,1]
	v_pk_add_f16 v11, v25, v42
	v_pk_mul_f16 v41, v20, v33
	v_pk_mul_f16 v35, v22, v37
	;; [unrolled: 1-line block ×5, first 2 shown]
	v_and_b32_e32 v37, 0xffff, v12
	v_and_b32_e32 v38, 0xffff, v31
	v_lshrrev_b32_e32 v12, 16, v12
	v_lshrrev_b32_e32 v42, 16, v31
	v_pk_mul_f16 v51, v21, v43
	v_pk_mul_f16 v52, v19, v10
	v_pk_mul_f16 v39, v20, v34
	v_pk_mul_f16 v36, v20, v9
	v_pk_mul_f16 v34, v22, v11
	v_and_b32_e32 v45, 0xffff, v32
	v_and_b32_e32 v46, 0xffff, v33
	v_lshrrev_b32_e32 v43, 16, v32
	v_lshrrev_b32_e32 v44, 16, v33
	v_pk_mul_f16 v31, v21, v47
	v_pk_mul_f16 v32, v20, v48
	;; [unrolled: 1-line block ×3, first 2 shown]
	v_lshl_or_b32 v9, v41, 16, v37
	v_lshl_or_b32 v10, v35, 16, v38
	v_and_or_b32 v11, 0xffff0000, v41, v12
	v_and_or_b32 v12, 0xffff0000, v35, v42
	v_and_b32_e32 v41, 0xffff, v51
	v_and_b32_e32 v42, 0xffff, v52
	v_lshrrev_b32_e32 v38, 16, v51
	v_lshrrev_b32_e32 v37, 16, v52
	v_pk_mul_f16 v35, v22, v50
	s_cbranch_vccnz .LBB1_22
; %bb.14:                               ;   in Loop: Header=BB1_8 Depth=1
	v_mov_b32_e32 v0, s16
	v_pk_mul_f16 v47, v21, v47
	ds_read_b128 v[51:54], v0 offset:32
	ds_read_b128 v[0:3], v0 offset:48
	s_waitcnt lgkmcnt(1)
	v_mad_u64_u32 v[55:56], null, v51, s1, v[4:5]
	v_mad_u64_u32 v[51:52], null, v52, s1, v[4:5]
	v_ashrrev_i32_e32 v56, 31, v55
	v_ashrrev_i32_e32 v52, 31, v51
	v_lshlrev_b64 v[55:56], 1, v[55:56]
	v_lshlrev_b64 v[51:52], 1, v[51:52]
	v_add_co_u32 v55, vcc_lo, s4, v55
	v_add_co_ci_u32_e64 v56, null, s5, v56, vcc_lo
	v_add_co_u32 v51, vcc_lo, s4, v51
	v_add_co_ci_u32_e64 v52, null, s5, v52, vcc_lo
	global_store_dwordx2 v[55:56], v[9:10], off
	v_mad_u64_u32 v[55:56], null, v53, s1, v[4:5]
	v_mad_u64_u32 v[53:54], null, v54, s1, v[4:5]
	global_store_dwordx2 v[51:52], v[11:12], off
	v_lshl_or_b32 v51, v39, 16, v45
	v_lshl_or_b32 v52, v40, 16, v46
	v_ashrrev_i32_e32 v56, 31, v55
	v_ashrrev_i32_e32 v54, 31, v53
	v_lshlrev_b64 v[55:56], 1, v[55:56]
	v_lshlrev_b64 v[53:54], 1, v[53:54]
	v_add_co_u32 v55, vcc_lo, s4, v55
	v_add_co_ci_u32_e64 v56, null, s5, v56, vcc_lo
	v_add_co_u32 v53, vcc_lo, s4, v53
	v_add_co_ci_u32_e64 v54, null, s5, v54, vcc_lo
	global_store_dwordx2 v[55:56], v[51:52], off
	v_and_or_b32 v51, 0xffff0000, v39, v43
	v_and_or_b32 v52, 0xffff0000, v40, v44
	global_store_dwordx2 v[53:54], v[51:52], off
	s_waitcnt lgkmcnt(0)
	v_mad_u64_u32 v[53:54], null, v0, s1, v[4:5]
	v_mad_u64_u32 v[0:1], null, v1, s1, v[4:5]
	v_lshl_or_b32 v51, v36, 16, v41
	v_lshl_or_b32 v52, v34, 16, v42
	v_ashrrev_i32_e32 v54, 31, v53
	v_ashrrev_i32_e32 v1, 31, v0
	v_lshlrev_b64 v[53:54], 1, v[53:54]
	v_lshlrev_b64 v[0:1], 1, v[0:1]
	v_add_co_u32 v53, vcc_lo, s4, v53
	v_add_co_ci_u32_e64 v54, null, s5, v54, vcc_lo
	v_add_co_u32 v0, vcc_lo, s4, v0
	v_add_co_ci_u32_e64 v1, null, s5, v1, vcc_lo
	global_store_dwordx2 v[53:54], v[51:52], off
	v_and_or_b32 v51, 0xffff0000, v36, v38
	v_and_or_b32 v52, 0xffff0000, v34, v37
	global_store_dwordx2 v[0:1], v[51:52], off
	v_mad_u64_u32 v[51:52], null, v2, s1, v[4:5]
	v_pk_mul_f16 v0, v20, v48
	v_pk_mul_f16 v48, v19, v49
	;; [unrolled: 1-line block ×3, first 2 shown]
	v_and_b32_e32 v49, 0xffff, v47
	v_ashrrev_i32_e32 v52, 31, v51
	v_and_b32_e32 v50, 0xffff, v48
	v_lshl_or_b32 v49, v0, 16, v49
	v_lshlrev_b64 v[51:52], 1, v[51:52]
	v_lshl_or_b32 v50, v1, 16, v50
	v_add_co_u32 v51, vcc_lo, s4, v51
	v_add_co_ci_u32_e64 v52, null, s5, v52, vcc_lo
	global_store_dwordx2 v[51:52], v[49:50], off
	s_cbranch_execnz .LBB1_16
.LBB1_15:                               ;   in Loop: Header=BB1_8 Depth=1
	v_add_nc_u32_e32 v0, s41, v13
	v_add_nc_u32_e32 v2, s40, v13
	;; [unrolled: 1-line block ×4, first 2 shown]
	v_lshl_or_b32 v45, v39, 16, v45
	v_ashrrev_i32_e32 v1, 31, v0
	v_ashrrev_i32_e32 v3, 31, v2
	v_ashrrev_i32_e32 v48, 31, v47
	v_ashrrev_i32_e32 v50, 31, v49
	v_lshl_or_b32 v46, v40, 16, v46
	v_lshlrev_b64 v[0:1], 1, v[0:1]
	v_lshlrev_b64 v[2:3], 1, v[2:3]
	v_lshlrev_b64 v[47:48], 1, v[47:48]
	v_lshl_or_b32 v41, v36, 16, v41
	v_lshl_or_b32 v42, v34, 16, v42
	v_and_or_b32 v36, 0xffff0000, v36, v38
	v_add_co_u32 v0, vcc_lo, s4, v0
	v_add_co_ci_u32_e64 v1, null, s5, v1, vcc_lo
	v_add_co_u32 v2, vcc_lo, s4, v2
	v_add_co_ci_u32_e64 v3, null, s5, v3, vcc_lo
	global_store_dwordx2 v[0:1], v[9:10], off
	global_store_dwordx2 v[2:3], v[11:12], off
	v_add_nc_u32_e32 v0, s36, v13
	v_lshlrev_b64 v[2:3], 1, v[49:50]
	v_add_co_u32 v47, vcc_lo, s4, v47
	v_add_nc_u32_e32 v11, s37, v13
	v_ashrrev_i32_e32 v1, 31, v0
	v_add_co_ci_u32_e64 v48, null, s5, v48, vcc_lo
	v_and_or_b32 v9, 0xffff0000, v39, v43
	v_add_co_u32 v39, vcc_lo, s4, v2
	v_lshlrev_b64 v[0:1], 1, v[0:1]
	v_add_nc_u32_e32 v2, s35, v13
	v_ashrrev_i32_e32 v12, 31, v11
	v_and_or_b32 v10, 0xffff0000, v40, v44
	v_add_co_ci_u32_e64 v40, null, s5, v3, vcc_lo
	v_ashrrev_i32_e32 v3, 31, v2
	v_add_co_u32 v43, vcc_lo, s4, v0
	v_add_co_ci_u32_e64 v44, null, s5, v1, vcc_lo
	v_lshlrev_b64 v[0:1], 1, v[11:12]
	v_lshlrev_b64 v[2:3], 1, v[2:3]
	v_and_or_b32 v37, 0xffff0000, v34, v37
	v_and_b32_e32 v34, 0xffff, v31
	v_and_b32_e32 v38, 0xffff, v33
	s_add_i32 s50, s14, 15
	v_add_co_u32 v11, vcc_lo, s4, v0
	v_add_co_ci_u32_e64 v12, null, s5, v1, vcc_lo
	v_add_co_u32 v49, vcc_lo, s4, v2
	global_store_dwordx2 v[47:48], v[45:46], off
	v_add_co_ci_u32_e64 v50, null, s5, v3, vcc_lo
	v_mov_b32_e32 v3, s50
	v_mov_b32_e32 v47, v31
	;; [unrolled: 1-line block ×5, first 2 shown]
	v_lshl_or_b32 v45, v32, 16, v34
	v_lshl_or_b32 v46, v35, 16, v38
	global_store_dwordx2 v[39:40], v[9:10], off
	global_store_dwordx2 v[43:44], v[41:42], off
	;; [unrolled: 1-line block ×4, first 2 shown]
.LBB1_16:                               ;   in Loop: Header=BB1_8 Depth=1
	v_add_co_u32 v7, vcc_lo, v7, s6
	v_add_co_ci_u32_e64 v8, null, s7, v8, vcc_lo
	v_lshrrev_b32_e32 v31, 16, v47
	v_lshrrev_b32_e32 v32, 16, v48
	v_mad_u64_u32 v[2:3], null, v3, s1, v[4:5]
	global_load_dwordx4 v[9:12], v[7:8], off
	v_and_or_b32 v0, 0xffff0000, v0, v31
	v_and_or_b32 v1, 0xffff0000, v1, v32
	v_ashrrev_i32_e32 v3, 31, v2
	v_lshlrev_b64 v[2:3], 1, v[2:3]
	v_add_co_u32 v2, vcc_lo, s4, v2
	v_add_co_ci_u32_e64 v3, null, s5, v3, vcc_lo
	s_andn2_b32 vcc_lo, exec_lo, s15
	global_store_dwordx2 v[2:3], v[0:1], off
	s_waitcnt vmcnt(0)
	v_and_or_b32 v31, v9, s48, 0x64006400
	v_and_or_b32 v32, v9, s49, 0x64006400
	v_lshrrev_b32_e32 v9, 8, v9
	v_and_or_b32 v33, v10, s48, 0x64006400
	v_and_or_b32 v34, v10, s49, 0x64006400
	v_lshrrev_b32_e32 v10, 8, v10
	v_and_or_b32 v35, v11, s48, 0x64006400
	v_and_or_b32 v36, v11, s49, 0x64006400
	v_lshrrev_b32_e32 v11, 8, v11
	v_and_or_b32 v37, v12, s48, 0x64006400
	v_and_or_b32 v38, v12, s49, 0x64006400
	v_lshrrev_b32_e32 v12, 8, v12
	v_and_or_b32 v39, v9, s48, 0x64006400
	v_pk_add_f16 v31, v23, v31
	v_and_or_b32 v40, v10, s48, 0x64006400
	v_and_or_b32 v10, v10, s49, 0x64006400
	v_and_or_b32 v41, v11, s48, 0x64006400
	v_pk_add_f16 v35, v24, v35
	v_and_or_b32 v42, v12, s48, 0x64006400
	v_and_or_b32 v12, v12, s49, 0x64006400
	;; [unrolled: 1-line block ×3, first 2 shown]
	v_pk_fma_f16 v32, 0x2c00, v32, v27 op_sel_hi:[0,1,1]
	v_pk_add_f16 v33, v26, v33
	v_and_or_b32 v11, v11, s49, 0x64006400
	v_pk_fma_f16 v36, 0x2c00, v36, v29 op_sel_hi:[0,1,1]
	v_pk_add_f16 v37, v25, v37
	v_pk_fma_f16 v38, 0x2c00, v38, v30 op_sel_hi:[0,1,1]
	v_pk_add_f16 v43, v23, v39
	;; [unrolled: 2-line block ×3, first 2 shown]
	v_pk_fma_f16 v50, 0x2c00, v12, v30 op_sel_hi:[0,1,1]
	v_pk_mul_f16 v12, v21, v31
	v_pk_mul_f16 v31, v19, v35
	v_pk_fma_f16 v34, 0x2c00, v34, v28 op_sel_hi:[0,1,1]
	v_pk_fma_f16 v47, 0x2c00, v9, v27 op_sel_hi:[0,1,1]
	v_pk_add_f16 v9, v26, v40
	v_pk_fma_f16 v49, 0x2c00, v11, v29 op_sel_hi:[0,1,1]
	v_pk_add_f16 v11, v25, v42
	v_pk_mul_f16 v41, v20, v33
	v_pk_mul_f16 v35, v22, v37
	;; [unrolled: 1-line block ×5, first 2 shown]
	v_and_b32_e32 v37, 0xffff, v12
	v_and_b32_e32 v38, 0xffff, v31
	v_lshrrev_b32_e32 v12, 16, v12
	v_lshrrev_b32_e32 v42, 16, v31
	v_pk_mul_f16 v51, v21, v43
	v_pk_mul_f16 v52, v19, v10
	v_pk_mul_f16 v39, v20, v34
	v_pk_mul_f16 v36, v20, v9
	v_pk_mul_f16 v34, v22, v11
	v_and_b32_e32 v45, 0xffff, v32
	v_and_b32_e32 v46, 0xffff, v33
	v_lshrrev_b32_e32 v43, 16, v32
	v_lshrrev_b32_e32 v44, 16, v33
	v_pk_mul_f16 v31, v21, v47
	v_pk_mul_f16 v32, v20, v48
	;; [unrolled: 1-line block ×3, first 2 shown]
	v_lshl_or_b32 v9, v41, 16, v37
	v_lshl_or_b32 v10, v35, 16, v38
	v_and_or_b32 v11, 0xffff0000, v41, v12
	v_and_or_b32 v12, 0xffff0000, v35, v42
	v_and_b32_e32 v41, 0xffff, v51
	v_and_b32_e32 v42, 0xffff, v52
	v_lshrrev_b32_e32 v38, 16, v51
	v_lshrrev_b32_e32 v37, 16, v52
	v_pk_mul_f16 v35, v22, v50
	s_cbranch_vccnz .LBB1_23
; %bb.17:                               ;   in Loop: Header=BB1_8 Depth=1
	v_mov_b32_e32 v0, s16
	v_pk_mul_f16 v47, v21, v47
	ds_read_b128 v[51:54], v0 offset:64
	ds_read_b128 v[0:3], v0 offset:80
	s_waitcnt lgkmcnt(1)
	v_mad_u64_u32 v[55:56], null, v51, s1, v[4:5]
	v_mad_u64_u32 v[51:52], null, v52, s1, v[4:5]
	v_ashrrev_i32_e32 v56, 31, v55
	v_ashrrev_i32_e32 v52, 31, v51
	v_lshlrev_b64 v[55:56], 1, v[55:56]
	v_lshlrev_b64 v[51:52], 1, v[51:52]
	v_add_co_u32 v55, vcc_lo, s4, v55
	v_add_co_ci_u32_e64 v56, null, s5, v56, vcc_lo
	v_add_co_u32 v51, vcc_lo, s4, v51
	v_add_co_ci_u32_e64 v52, null, s5, v52, vcc_lo
	global_store_dwordx2 v[55:56], v[9:10], off
	v_mad_u64_u32 v[55:56], null, v53, s1, v[4:5]
	v_mad_u64_u32 v[53:54], null, v54, s1, v[4:5]
	global_store_dwordx2 v[51:52], v[11:12], off
	v_lshl_or_b32 v51, v39, 16, v45
	v_lshl_or_b32 v52, v40, 16, v46
	v_ashrrev_i32_e32 v56, 31, v55
	v_ashrrev_i32_e32 v54, 31, v53
	v_lshlrev_b64 v[55:56], 1, v[55:56]
	v_lshlrev_b64 v[53:54], 1, v[53:54]
	v_add_co_u32 v55, vcc_lo, s4, v55
	v_add_co_ci_u32_e64 v56, null, s5, v56, vcc_lo
	v_add_co_u32 v53, vcc_lo, s4, v53
	v_add_co_ci_u32_e64 v54, null, s5, v54, vcc_lo
	global_store_dwordx2 v[55:56], v[51:52], off
	v_and_or_b32 v51, 0xffff0000, v39, v43
	v_and_or_b32 v52, 0xffff0000, v40, v44
	global_store_dwordx2 v[53:54], v[51:52], off
	s_waitcnt lgkmcnt(0)
	v_mad_u64_u32 v[53:54], null, v0, s1, v[4:5]
	v_mad_u64_u32 v[0:1], null, v1, s1, v[4:5]
	v_lshl_or_b32 v51, v36, 16, v41
	v_lshl_or_b32 v52, v34, 16, v42
	v_ashrrev_i32_e32 v54, 31, v53
	v_ashrrev_i32_e32 v1, 31, v0
	v_lshlrev_b64 v[53:54], 1, v[53:54]
	v_lshlrev_b64 v[0:1], 1, v[0:1]
	v_add_co_u32 v53, vcc_lo, s4, v53
	v_add_co_ci_u32_e64 v54, null, s5, v54, vcc_lo
	v_add_co_u32 v0, vcc_lo, s4, v0
	v_add_co_ci_u32_e64 v1, null, s5, v1, vcc_lo
	global_store_dwordx2 v[53:54], v[51:52], off
	v_and_or_b32 v51, 0xffff0000, v36, v38
	v_and_or_b32 v52, 0xffff0000, v34, v37
	global_store_dwordx2 v[0:1], v[51:52], off
	v_mad_u64_u32 v[51:52], null, v2, s1, v[4:5]
	v_pk_mul_f16 v0, v20, v48
	v_pk_mul_f16 v48, v19, v49
	;; [unrolled: 1-line block ×3, first 2 shown]
	v_and_b32_e32 v49, 0xffff, v47
	v_ashrrev_i32_e32 v52, 31, v51
	v_and_b32_e32 v50, 0xffff, v48
	v_lshl_or_b32 v49, v0, 16, v49
	v_lshlrev_b64 v[51:52], 1, v[51:52]
	v_lshl_or_b32 v50, v1, 16, v50
	v_add_co_u32 v51, vcc_lo, s4, v51
	v_add_co_ci_u32_e64 v52, null, s5, v52, vcc_lo
	global_store_dwordx2 v[51:52], v[49:50], off
	s_cbranch_execnz .LBB1_19
.LBB1_18:                               ;   in Loop: Header=BB1_8 Depth=1
	v_add_nc_u32_e32 v0, s34, v13
	v_add_nc_u32_e32 v2, s33, v13
	v_add_nc_u32_e32 v47, s30, v13
	v_add_nc_u32_e32 v49, s31, v13
	v_lshl_or_b32 v45, v39, 16, v45
	v_ashrrev_i32_e32 v1, 31, v0
	v_ashrrev_i32_e32 v3, 31, v2
	;; [unrolled: 1-line block ×4, first 2 shown]
	v_lshl_or_b32 v46, v40, 16, v46
	v_lshlrev_b64 v[0:1], 1, v[0:1]
	v_lshlrev_b64 v[2:3], 1, v[2:3]
	;; [unrolled: 1-line block ×3, first 2 shown]
	v_lshl_or_b32 v41, v36, 16, v41
	v_lshl_or_b32 v42, v34, 16, v42
	v_and_or_b32 v36, 0xffff0000, v36, v38
	v_add_co_u32 v0, vcc_lo, s4, v0
	v_add_co_ci_u32_e64 v1, null, s5, v1, vcc_lo
	v_add_co_u32 v2, vcc_lo, s4, v2
	v_add_co_ci_u32_e64 v3, null, s5, v3, vcc_lo
	global_store_dwordx2 v[0:1], v[9:10], off
	global_store_dwordx2 v[2:3], v[11:12], off
	v_add_nc_u32_e32 v0, s28, v13
	v_lshlrev_b64 v[2:3], 1, v[49:50]
	v_add_co_u32 v47, vcc_lo, s4, v47
	v_add_nc_u32_e32 v11, s29, v13
	v_ashrrev_i32_e32 v1, 31, v0
	v_add_co_ci_u32_e64 v48, null, s5, v48, vcc_lo
	v_and_or_b32 v9, 0xffff0000, v39, v43
	v_add_co_u32 v39, vcc_lo, s4, v2
	v_lshlrev_b64 v[0:1], 1, v[0:1]
	v_add_nc_u32_e32 v2, s27, v13
	v_ashrrev_i32_e32 v12, 31, v11
	v_and_or_b32 v10, 0xffff0000, v40, v44
	v_add_co_ci_u32_e64 v40, null, s5, v3, vcc_lo
	v_ashrrev_i32_e32 v3, 31, v2
	v_add_co_u32 v43, vcc_lo, s4, v0
	v_add_co_ci_u32_e64 v44, null, s5, v1, vcc_lo
	v_lshlrev_b64 v[0:1], 1, v[11:12]
	v_lshlrev_b64 v[2:3], 1, v[2:3]
	v_and_or_b32 v37, 0xffff0000, v34, v37
	v_and_b32_e32 v34, 0xffff, v31
	v_and_b32_e32 v38, 0xffff, v33
	s_add_i32 s50, s14, 23
	v_add_co_u32 v11, vcc_lo, s4, v0
	v_add_co_ci_u32_e64 v12, null, s5, v1, vcc_lo
	v_add_co_u32 v49, vcc_lo, s4, v2
	global_store_dwordx2 v[47:48], v[45:46], off
	v_add_co_ci_u32_e64 v50, null, s5, v3, vcc_lo
	v_mov_b32_e32 v3, s50
	v_mov_b32_e32 v47, v31
	v_mov_b32_e32 v0, v32
	v_mov_b32_e32 v48, v33
	v_mov_b32_e32 v1, v35
	v_lshl_or_b32 v45, v32, 16, v34
	v_lshl_or_b32 v46, v35, 16, v38
	global_store_dwordx2 v[39:40], v[9:10], off
	global_store_dwordx2 v[43:44], v[41:42], off
	;; [unrolled: 1-line block ×4, first 2 shown]
.LBB1_19:                               ;   in Loop: Header=BB1_8 Depth=1
	v_add_co_u32 v7, vcc_lo, v7, s6
	v_add_co_ci_u32_e64 v8, null, s7, v8, vcc_lo
	v_lshrrev_b32_e32 v11, 16, v47
	v_lshrrev_b32_e32 v12, 16, v48
	v_mad_u64_u32 v[2:3], null, v3, s1, v[4:5]
	global_load_dwordx4 v[7:10], v[7:8], off
	v_and_or_b32 v0, 0xffff0000, v0, v11
	v_and_or_b32 v1, 0xffff0000, v1, v12
	v_ashrrev_i32_e32 v3, 31, v2
	v_lshlrev_b64 v[2:3], 1, v[2:3]
	v_add_co_u32 v2, vcc_lo, s4, v2
	v_add_co_ci_u32_e64 v3, null, s5, v3, vcc_lo
	s_andn2_b32 vcc_lo, exec_lo, s15
	global_store_dwordx2 v[2:3], v[0:1], off
	s_waitcnt vmcnt(0)
	v_and_or_b32 v11, v7, s48, 0x64006400
	v_and_or_b32 v12, v7, s49, 0x64006400
	v_lshrrev_b32_e32 v7, 8, v7
	v_and_or_b32 v31, v8, s48, 0x64006400
	v_and_or_b32 v32, v8, s49, 0x64006400
	v_lshrrev_b32_e32 v8, 8, v8
	;; [unrolled: 3-line block ×4, first 2 shown]
	v_and_or_b32 v37, v7, s48, 0x64006400
	v_pk_add_f16 v11, v23, v11
	v_and_or_b32 v38, v8, s48, 0x64006400
	v_and_or_b32 v8, v8, s49, 0x64006400
	v_and_or_b32 v39, v9, s48, 0x64006400
	v_pk_add_f16 v33, v24, v33
	v_and_or_b32 v40, v10, s48, 0x64006400
	v_and_or_b32 v10, v10, s49, 0x64006400
	;; [unrolled: 1-line block ×3, first 2 shown]
	v_pk_fma_f16 v12, 0x2c00, v12, v27 op_sel_hi:[0,1,1]
	v_pk_add_f16 v31, v26, v31
	v_and_or_b32 v9, v9, s49, 0x64006400
	v_pk_fma_f16 v34, 0x2c00, v34, v29 op_sel_hi:[0,1,1]
	v_pk_add_f16 v35, v25, v35
	v_pk_fma_f16 v36, 0x2c00, v36, v30 op_sel_hi:[0,1,1]
	v_pk_add_f16 v41, v23, v37
	;; [unrolled: 2-line block ×3, first 2 shown]
	v_pk_fma_f16 v48, 0x2c00, v10, v30 op_sel_hi:[0,1,1]
	v_pk_mul_f16 v10, v21, v11
	v_pk_mul_f16 v11, v19, v33
	v_pk_fma_f16 v32, 0x2c00, v32, v28 op_sel_hi:[0,1,1]
	v_pk_fma_f16 v45, 0x2c00, v7, v27 op_sel_hi:[0,1,1]
	v_pk_add_f16 v7, v26, v38
	v_pk_fma_f16 v47, 0x2c00, v9, v29 op_sel_hi:[0,1,1]
	v_pk_add_f16 v9, v25, v40
	v_pk_mul_f16 v39, v20, v31
	v_pk_mul_f16 v33, v22, v35
	;; [unrolled: 1-line block ×5, first 2 shown]
	v_and_b32_e32 v35, 0xffff, v10
	v_and_b32_e32 v36, 0xffff, v11
	v_lshrrev_b32_e32 v10, 16, v10
	v_lshrrev_b32_e32 v40, 16, v11
	v_pk_mul_f16 v49, v21, v41
	v_pk_mul_f16 v50, v19, v8
	;; [unrolled: 1-line block ×5, first 2 shown]
	v_and_b32_e32 v43, 0xffff, v12
	v_and_b32_e32 v44, 0xffff, v31
	v_lshrrev_b32_e32 v41, 16, v12
	v_lshrrev_b32_e32 v42, 16, v31
	v_pk_mul_f16 v11, v21, v45
	v_pk_mul_f16 v12, v20, v46
	;; [unrolled: 1-line block ×3, first 2 shown]
	v_lshl_or_b32 v7, v39, 16, v35
	v_lshl_or_b32 v8, v33, 16, v36
	v_and_or_b32 v9, 0xffff0000, v39, v10
	v_and_or_b32 v10, 0xffff0000, v33, v40
	v_and_b32_e32 v39, 0xffff, v49
	v_and_b32_e32 v40, 0xffff, v50
	v_lshrrev_b32_e32 v36, 16, v49
	v_lshrrev_b32_e32 v35, 16, v50
	v_pk_mul_f16 v33, v22, v48
	s_cbranch_vccnz .LBB1_24
; %bb.20:                               ;   in Loop: Header=BB1_8 Depth=1
	v_mov_b32_e32 v0, s16
	v_pk_mul_f16 v45, v21, v45
	ds_read_b128 v[49:52], v0 offset:96
	ds_read_b128 v[0:3], v0 offset:112
	s_waitcnt lgkmcnt(1)
	v_mad_u64_u32 v[53:54], null, v49, s1, v[4:5]
	v_mad_u64_u32 v[49:50], null, v50, s1, v[4:5]
	v_ashrrev_i32_e32 v54, 31, v53
	v_ashrrev_i32_e32 v50, 31, v49
	v_lshlrev_b64 v[53:54], 1, v[53:54]
	v_lshlrev_b64 v[49:50], 1, v[49:50]
	v_add_co_u32 v53, vcc_lo, s4, v53
	v_add_co_ci_u32_e64 v54, null, s5, v54, vcc_lo
	v_add_co_u32 v49, vcc_lo, s4, v49
	v_add_co_ci_u32_e64 v50, null, s5, v50, vcc_lo
	global_store_dwordx2 v[53:54], v[7:8], off
	v_mad_u64_u32 v[53:54], null, v51, s1, v[4:5]
	v_mad_u64_u32 v[51:52], null, v52, s1, v[4:5]
	global_store_dwordx2 v[49:50], v[9:10], off
	v_lshl_or_b32 v49, v37, 16, v43
	v_lshl_or_b32 v50, v38, 16, v44
	v_ashrrev_i32_e32 v54, 31, v53
	v_ashrrev_i32_e32 v52, 31, v51
	v_lshlrev_b64 v[53:54], 1, v[53:54]
	v_lshlrev_b64 v[51:52], 1, v[51:52]
	v_add_co_u32 v53, vcc_lo, s4, v53
	v_add_co_ci_u32_e64 v54, null, s5, v54, vcc_lo
	v_add_co_u32 v51, vcc_lo, s4, v51
	v_add_co_ci_u32_e64 v52, null, s5, v52, vcc_lo
	global_store_dwordx2 v[53:54], v[49:50], off
	v_and_or_b32 v49, 0xffff0000, v37, v41
	v_and_or_b32 v50, 0xffff0000, v38, v42
	global_store_dwordx2 v[51:52], v[49:50], off
	s_waitcnt lgkmcnt(0)
	v_mad_u64_u32 v[51:52], null, v0, s1, v[4:5]
	v_mad_u64_u32 v[0:1], null, v1, s1, v[4:5]
	v_lshl_or_b32 v49, v34, 16, v39
	v_lshl_or_b32 v50, v32, 16, v40
	v_ashrrev_i32_e32 v52, 31, v51
	v_ashrrev_i32_e32 v1, 31, v0
	v_lshlrev_b64 v[51:52], 1, v[51:52]
	v_lshlrev_b64 v[0:1], 1, v[0:1]
	v_add_co_u32 v51, vcc_lo, s4, v51
	v_add_co_ci_u32_e64 v52, null, s5, v52, vcc_lo
	v_add_co_u32 v0, vcc_lo, s4, v0
	v_add_co_ci_u32_e64 v1, null, s5, v1, vcc_lo
	global_store_dwordx2 v[51:52], v[49:50], off
	v_and_or_b32 v49, 0xffff0000, v34, v36
	v_and_or_b32 v50, 0xffff0000, v32, v35
	global_store_dwordx2 v[0:1], v[49:50], off
	v_mad_u64_u32 v[49:50], null, v2, s1, v[4:5]
	v_pk_mul_f16 v0, v20, v46
	v_pk_mul_f16 v46, v19, v47
	;; [unrolled: 1-line block ×3, first 2 shown]
	v_and_b32_e32 v47, 0xffff, v45
	v_ashrrev_i32_e32 v50, 31, v49
	v_and_b32_e32 v48, 0xffff, v46
	v_lshl_or_b32 v47, v0, 16, v47
	v_lshlrev_b64 v[49:50], 1, v[49:50]
	v_lshl_or_b32 v48, v1, 16, v48
	v_add_co_u32 v49, vcc_lo, s4, v49
	v_add_co_ci_u32_e64 v50, null, s5, v50, vcc_lo
	global_store_dwordx2 v[49:50], v[47:48], off
	s_cbranch_execnz .LBB1_7
	s_branch .LBB1_25
.LBB1_21:                               ;   in Loop: Header=BB1_8 Depth=1
                                        ; implicit-def: $vgpr3
                                        ; implicit-def: $vgpr1
                                        ; implicit-def: $vgpr46
                                        ; implicit-def: $vgpr0
                                        ; implicit-def: $vgpr45
	s_branch .LBB1_12
.LBB1_22:                               ;   in Loop: Header=BB1_8 Depth=1
                                        ; implicit-def: $vgpr3
                                        ; implicit-def: $vgpr1
                                        ; implicit-def: $vgpr48
                                        ; implicit-def: $vgpr0
                                        ; implicit-def: $vgpr47
	s_branch .LBB1_15
.LBB1_23:                               ;   in Loop: Header=BB1_8 Depth=1
                                        ; implicit-def: $vgpr3
                                        ; implicit-def: $vgpr1
                                        ; implicit-def: $vgpr48
                                        ; implicit-def: $vgpr0
                                        ; implicit-def: $vgpr47
	s_branch .LBB1_18
.LBB1_24:                               ;   in Loop: Header=BB1_8 Depth=1
                                        ; implicit-def: $vgpr3
                                        ; implicit-def: $vgpr1
                                        ; implicit-def: $vgpr46
                                        ; implicit-def: $vgpr0
                                        ; implicit-def: $vgpr45
.LBB1_25:                               ;   in Loop: Header=BB1_8 Depth=1
	v_add_nc_u32_e32 v0, s26, v13
	v_add_nc_u32_e32 v2, s25, v13
	;; [unrolled: 1-line block ×4, first 2 shown]
	v_lshl_or_b32 v43, v37, 16, v43
	v_ashrrev_i32_e32 v1, 31, v0
	v_ashrrev_i32_e32 v3, 31, v2
	;; [unrolled: 1-line block ×4, first 2 shown]
	v_lshl_or_b32 v44, v38, 16, v44
	v_lshlrev_b64 v[0:1], 1, v[0:1]
	v_lshlrev_b64 v[2:3], 1, v[2:3]
	v_lshlrev_b64 v[45:46], 1, v[45:46]
	v_lshl_or_b32 v39, v34, 16, v39
	v_lshl_or_b32 v40, v32, 16, v40
	v_and_or_b32 v34, 0xffff0000, v34, v36
	v_add_co_u32 v0, vcc_lo, s4, v0
	v_add_co_ci_u32_e64 v1, null, s5, v1, vcc_lo
	v_add_co_u32 v2, vcc_lo, s4, v2
	v_add_co_ci_u32_e64 v3, null, s5, v3, vcc_lo
	global_store_dwordx2 v[0:1], v[7:8], off
	global_store_dwordx2 v[2:3], v[9:10], off
	v_add_nc_u32_e32 v0, s21, v13
	v_lshlrev_b64 v[2:3], 1, v[47:48]
	v_add_co_u32 v45, vcc_lo, s4, v45
	v_add_nc_u32_e32 v9, s22, v13
	v_ashrrev_i32_e32 v1, 31, v0
	v_add_co_ci_u32_e64 v46, null, s5, v46, vcc_lo
	v_and_or_b32 v7, 0xffff0000, v37, v41
	v_add_co_u32 v37, vcc_lo, s4, v2
	v_lshlrev_b64 v[0:1], 1, v[0:1]
	v_add_nc_u32_e32 v2, s20, v13
	v_ashrrev_i32_e32 v10, 31, v9
	v_and_or_b32 v8, 0xffff0000, v38, v42
	v_add_co_ci_u32_e64 v38, null, s5, v3, vcc_lo
	v_ashrrev_i32_e32 v3, 31, v2
	v_add_co_u32 v41, vcc_lo, s4, v0
	v_add_co_ci_u32_e64 v42, null, s5, v1, vcc_lo
	v_lshlrev_b64 v[0:1], 1, v[9:10]
	v_lshlrev_b64 v[2:3], 1, v[2:3]
	v_and_or_b32 v35, 0xffff0000, v32, v35
	v_and_b32_e32 v32, 0xffff, v11
	v_and_b32_e32 v36, 0xffff, v31
	s_add_i32 s50, s14, 31
	v_add_co_u32 v9, vcc_lo, s4, v0
	v_add_co_ci_u32_e64 v10, null, s5, v1, vcc_lo
	v_add_co_u32 v47, vcc_lo, s4, v2
	global_store_dwordx2 v[45:46], v[43:44], off
	v_add_co_ci_u32_e64 v48, null, s5, v3, vcc_lo
	v_mov_b32_e32 v3, s50
	v_mov_b32_e32 v45, v11
	;; [unrolled: 1-line block ×5, first 2 shown]
	v_lshl_or_b32 v43, v12, 16, v32
	v_lshl_or_b32 v44, v33, 16, v36
	global_store_dwordx2 v[37:38], v[7:8], off
	global_store_dwordx2 v[41:42], v[39:40], off
	;; [unrolled: 1-line block ×4, first 2 shown]
	s_branch .LBB1_7
.LBB1_26:
	s_endpgm
	.section	.rodata,"a",@progbits
	.p2align	6, 0x0
	.amdhsa_kernel _ZN4vllm4gptq31reconstruct_exllama_4bit_kernelEPKjPKiS2_PK6__halfiiibPS5_
		.amdhsa_group_segment_fixed_size 512
		.amdhsa_private_segment_fixed_size 0
		.amdhsa_kernarg_size 56
		.amdhsa_user_sgpr_count 6
		.amdhsa_user_sgpr_private_segment_buffer 1
		.amdhsa_user_sgpr_dispatch_ptr 0
		.amdhsa_user_sgpr_queue_ptr 0
		.amdhsa_user_sgpr_kernarg_segment_ptr 1
		.amdhsa_user_sgpr_dispatch_id 0
		.amdhsa_user_sgpr_flat_scratch_init 0
		.amdhsa_user_sgpr_private_segment_size 0
		.amdhsa_wavefront_size32 1
		.amdhsa_uses_dynamic_stack 0
		.amdhsa_system_sgpr_private_segment_wavefront_offset 0
		.amdhsa_system_sgpr_workgroup_id_x 1
		.amdhsa_system_sgpr_workgroup_id_y 1
		.amdhsa_system_sgpr_workgroup_id_z 0
		.amdhsa_system_sgpr_workgroup_info 0
		.amdhsa_system_vgpr_workitem_id 0
		.amdhsa_next_free_vgpr 57
		.amdhsa_next_free_sgpr 52
		.amdhsa_reserve_vcc 1
		.amdhsa_reserve_flat_scratch 0
		.amdhsa_float_round_mode_32 0
		.amdhsa_float_round_mode_16_64 0
		.amdhsa_float_denorm_mode_32 3
		.amdhsa_float_denorm_mode_16_64 3
		.amdhsa_dx10_clamp 1
		.amdhsa_ieee_mode 1
		.amdhsa_fp16_overflow 0
		.amdhsa_workgroup_processor_mode 1
		.amdhsa_memory_ordered 1
		.amdhsa_forward_progress 1
		.amdhsa_shared_vgpr_count 0
		.amdhsa_exception_fp_ieee_invalid_op 0
		.amdhsa_exception_fp_denorm_src 0
		.amdhsa_exception_fp_ieee_div_zero 0
		.amdhsa_exception_fp_ieee_overflow 0
		.amdhsa_exception_fp_ieee_underflow 0
		.amdhsa_exception_fp_ieee_inexact 0
		.amdhsa_exception_int_div_zero 0
	.end_amdhsa_kernel
	.text
.Lfunc_end1:
	.size	_ZN4vllm4gptq31reconstruct_exllama_4bit_kernelEPKjPKiS2_PK6__halfiiibPS5_, .Lfunc_end1-_ZN4vllm4gptq31reconstruct_exllama_4bit_kernelEPKjPKiS2_PK6__halfiiibPS5_
                                        ; -- End function
	.set _ZN4vllm4gptq31reconstruct_exllama_4bit_kernelEPKjPKiS2_PK6__halfiiibPS5_.num_vgpr, 57
	.set _ZN4vllm4gptq31reconstruct_exllama_4bit_kernelEPKjPKiS2_PK6__halfiiibPS5_.num_agpr, 0
	.set _ZN4vllm4gptq31reconstruct_exllama_4bit_kernelEPKjPKiS2_PK6__halfiiibPS5_.numbered_sgpr, 52
	.set _ZN4vllm4gptq31reconstruct_exllama_4bit_kernelEPKjPKiS2_PK6__halfiiibPS5_.num_named_barrier, 0
	.set _ZN4vllm4gptq31reconstruct_exllama_4bit_kernelEPKjPKiS2_PK6__halfiiibPS5_.private_seg_size, 0
	.set _ZN4vllm4gptq31reconstruct_exllama_4bit_kernelEPKjPKiS2_PK6__halfiiibPS5_.uses_vcc, 1
	.set _ZN4vllm4gptq31reconstruct_exllama_4bit_kernelEPKjPKiS2_PK6__halfiiibPS5_.uses_flat_scratch, 0
	.set _ZN4vllm4gptq31reconstruct_exllama_4bit_kernelEPKjPKiS2_PK6__halfiiibPS5_.has_dyn_sized_stack, 0
	.set _ZN4vllm4gptq31reconstruct_exllama_4bit_kernelEPKjPKiS2_PK6__halfiiibPS5_.has_recursion, 0
	.set _ZN4vllm4gptq31reconstruct_exllama_4bit_kernelEPKjPKiS2_PK6__halfiiibPS5_.has_indirect_call, 0
	.section	.AMDGPU.csdata,"",@progbits
; Kernel info:
; codeLenInByte = 8240
; TotalNumSgprs: 54
; NumVgprs: 57
; ScratchSize: 0
; MemoryBound: 0
; FloatMode: 240
; IeeeMode: 1
; LDSByteSize: 512 bytes/workgroup (compile time only)
; SGPRBlocks: 0
; VGPRBlocks: 7
; NumSGPRsForWavesPerEU: 54
; NumVGPRsForWavesPerEU: 57
; Occupancy: 16
; WaveLimiterHint : 0
; COMPUTE_PGM_RSRC2:SCRATCH_EN: 0
; COMPUTE_PGM_RSRC2:USER_SGPR: 6
; COMPUTE_PGM_RSRC2:TRAP_HANDLER: 0
; COMPUTE_PGM_RSRC2:TGID_X_EN: 1
; COMPUTE_PGM_RSRC2:TGID_Y_EN: 1
; COMPUTE_PGM_RSRC2:TGID_Z_EN: 0
; COMPUTE_PGM_RSRC2:TIDIG_COMP_CNT: 0
	.text
	.protected	_ZN4vllm4gptq31reconstruct_exllama_3bit_kernelEPKjPKiS2_PK6__halfiiibPS5_ ; -- Begin function _ZN4vllm4gptq31reconstruct_exllama_3bit_kernelEPKjPKiS2_PK6__halfiiibPS5_
	.globl	_ZN4vllm4gptq31reconstruct_exllama_3bit_kernelEPKjPKiS2_PK6__halfiiibPS5_
	.p2align	8
	.type	_ZN4vllm4gptq31reconstruct_exllama_3bit_kernelEPKjPKiS2_PK6__halfiiibPS5_,@function
_ZN4vllm4gptq31reconstruct_exllama_3bit_kernelEPKjPKiS2_PK6__halfiiibPS5_: ; @_ZN4vllm4gptq31reconstruct_exllama_3bit_kernelEPKjPKiS2_PK6__halfiiibPS5_
; %bb.0:
	s_clause 0x1
	s_load_dwordx2 s[0:1], s[4:5], 0x8
	s_load_dwordx4 s[8:11], s[4:5], 0x20
	s_lshl_b32 s20, s7, 7
	s_waitcnt lgkmcnt(0)
	s_cmp_lg_u64 s[0:1], 0
	s_cselect_b32 s21, -1, 0
	s_cmp_eq_u64 s[0:1], 0
	s_cbranch_scc1 .LBB2_4
; %bb.1:
	v_add_nc_u32_e32 v1, s20, v0
	s_mov_b32 s2, exec_lo
	v_cmpx_gt_u32_e64 s8, v1
	s_cbranch_execz .LBB2_3
; %bb.2:
	v_mov_b32_e32 v2, 0
	v_lshlrev_b64 v[1:2], 2, v[1:2]
	v_add_co_u32 v1, vcc_lo, s0, v1
	v_add_co_ci_u32_e64 v2, null, s1, v2, vcc_lo
	global_load_dword v1, v[1:2], off
	v_lshlrev_b32_e32 v2, 2, v0
	s_waitcnt vmcnt(0)
	ds_write_b32 v2, v1
.LBB2_3:
	s_or_b32 exec_lo, exec_lo, s2
.LBB2_4:
	v_lshlrev_b32_e32 v16, 2, v0
	s_lshl_b32 s53, s6, 9
	s_mov_b32 s0, exec_lo
	v_add_nc_u32_e32 v12, s53, v16
	v_cmpx_gt_i32_e64 s9, v12
	s_cbranch_execz .LBB2_46
; %bb.5:
	s_abs_i32 s0, s10
	s_abs_i32 s3, s8
	v_cvt_f32_u32_e32 v0, s0
	s_sub_i32 s2, 0, s0
	s_load_dwordx2 s[12:13], s[4:5], 0x10
	v_and_b32_e32 v2, 28, v16
                                        ; implicit-def: $vgpr4
	v_rcp_iflag_f32_e32 v0, v0
	v_mul_f32_e32 v0, 0x4f7ffffe, v0
	v_cvt_u32_f32_e32 v0, v0
	v_readfirstlane_b32 s1, v0
	s_mul_i32 s2, s2, s1
	s_mul_hi_u32 s2, s1, s2
	s_add_i32 s1, s1, s2
	s_xor_b32 s2, s8, s10
	s_mul_hi_u32 s1, s3, s1
	s_ashr_i32 s2, s2, 31
	s_mul_i32 s6, s1, s0
	s_sub_i32 s3, s3, s6
	s_add_i32 s6, s1, 1
	s_sub_i32 s10, s3, s0
	s_cmp_ge_u32 s3, s0
	s_cselect_b32 s1, s6, s1
	s_cselect_b32 s3, s10, s3
	s_add_i32 s6, s1, 1
	s_cmp_ge_u32 s3, s0
	s_cselect_b32 s0, s6, s1
	s_xor_b32 s0, s0, s2
	s_sub_i32 s6, s0, s2
	v_cvt_f32_u32_e32 v0, s6
	s_sub_i32 s1, 0, s6
	v_rcp_iflag_f32_e32 v0, v0
	v_mul_f32_e32 v0, 0x4f7ffffe, v0
	v_cvt_u32_f32_e32 v0, v0
	v_readfirstlane_b32 s0, v0
                                        ; implicit-def: $vgpr0
	s_mul_i32 s1, s1, s0
	s_mul_hi_u32 s1, s0, s1
	s_add_i32 s0, s0, s1
	s_mul_hi_u32 s0, s20, s0
	s_mul_i32 s1, s0, s6
	s_add_i32 s2, s0, 1
	s_sub_i32 s1, s20, s1
	s_sub_i32 s3, s1, s6
	s_cmp_ge_u32 s1, s6
	s_cselect_b32 s2, s2, s0
	s_cselect_b32 s1, s3, s1
	s_add_i32 s3, s2, 1
	v_cmp_lt_u32_e64 s0, 4, v2
	s_cmp_ge_u32 s1, s6
	s_cselect_b32 s10, s3, s2
	s_and_saveexec_b32 s1, s0
	s_xor_b32 s1, exec_lo, s1
	s_cbranch_execz .LBB2_19
; %bb.6:
	s_mov_b32 s2, exec_lo
                                        ; implicit-def: $vgpr4
                                        ; implicit-def: $vgpr0
	v_cmpx_ne_u32_e32 8, v2
	s_xor_b32 s2, exec_lo, s2
	s_cbranch_execz .LBB2_16
; %bb.7:
	s_mov_b32 s3, exec_lo
                                        ; implicit-def: $vgpr4
                                        ; implicit-def: $vgpr0
	v_cmpx_lt_u32_e32 16, v2
	s_xor_b32 s3, exec_lo, s3
	s_cbranch_execz .LBB2_13
; %bb.8:
	v_lshl_add_u32 v0, v12, 1, v12
	s_mul_i32 s14, s10, s9
                                        ; implicit-def: $vgpr4
	s_ashr_i32 s15, s14, 31
	s_lshr_b32 s15, s15, 27
	v_ashrrev_i32_e32 v1, 31, v0
	s_add_i32 s15, s14, s15
	s_ashr_i32 s15, s15, 5
	v_lshrrev_b32_e32 v1, 27, v1
	v_add_nc_u32_e32 v0, v0, v1
	v_ashrrev_i32_e32 v0, 5, v0
	v_mad_u64_u32 v[0:1], null, s15, 3, v[0:1]
	s_mov_b32 s15, exec_lo
	v_ashrrev_i32_e32 v1, 31, v0
	v_lshlrev_b64 v[0:1], 2, v[0:1]
	s_waitcnt lgkmcnt(0)
	v_add_co_u32 v0, vcc_lo, s12, v0
	v_add_co_ci_u32_e64 v1, null, s13, v1, vcc_lo
	global_load_dword v3, v[0:1], off
	v_cmpx_ne_u32_e32 20, v2
	s_xor_b32 s15, exec_lo, s15
	s_cbranch_execz .LBB2_10
; %bb.9:
	v_mad_u32_u24 v0, v2, 3, 0xffffffc0
	s_waitcnt vmcnt(0)
	v_lshrrev_b32_e32 v4, v0, v3
                                        ; implicit-def: $vgpr0_vgpr1
                                        ; implicit-def: $vgpr3
.LBB2_10:
	s_andn2_saveexec_b32 s15, s15
	s_cbranch_execz .LBB2_12
; %bb.11:
	global_load_dword v0, v[0:1], off offset:4
	s_waitcnt vmcnt(0)
	v_alignbit_b32 v0, v0, v3, 28
	v_and_b32_e32 v4, 0xfff, v0
.LBB2_12:
	s_or_b32 exec_lo, exec_lo, s15
	v_mov_b32_e32 v0, s14
.LBB2_13:
	s_andn2_saveexec_b32 s3, s3
	s_cbranch_execz .LBB2_15
; %bb.14:
	v_lshl_add_u32 v0, v12, 1, v12
	s_mul_i32 s14, s10, s9
	s_ashr_i32 s15, s14, 31
	s_lshr_b32 s15, s15, 27
	v_ashrrev_i32_e32 v1, 31, v0
	s_add_i32 s15, s14, s15
	s_ashr_i32 s15, s15, 5
	v_lshrrev_b32_e32 v1, 27, v1
	v_add_nc_u32_e32 v0, v0, v1
	v_ashrrev_i32_e32 v0, 5, v0
	v_mad_u64_u32 v[0:1], null, s15, 3, v[0:1]
	v_ashrrev_i32_e32 v1, 31, v0
	v_lshlrev_b64 v[0:1], 2, v[0:1]
	s_waitcnt lgkmcnt(0)
	v_add_co_u32 v0, vcc_lo, s12, v0
	v_add_co_ci_u32_e64 v1, null, s13, v1, vcc_lo
	global_load_dword v0, v[0:1], off
	v_mad_u32_u24 v1, v2, 3, 0xffffffe0
	s_waitcnt vmcnt(0)
	v_lshrrev_b32_e32 v4, v1, v0
	v_mov_b32_e32 v0, s14
.LBB2_15:
	s_or_b32 exec_lo, exec_lo, s3
.LBB2_16:
	s_andn2_saveexec_b32 s2, s2
	s_cbranch_execz .LBB2_18
; %bb.17:
	v_lshl_add_u32 v0, v12, 1, v12
	s_mul_i32 s3, s10, s9
	s_ashr_i32 s14, s3, 31
	s_lshr_b32 s14, s14, 27
	v_ashrrev_i32_e32 v1, 31, v0
	s_add_i32 s14, s3, s14
	s_ashr_i32 s14, s14, 5
	v_lshrrev_b32_e32 v1, 27, v1
	v_add_nc_u32_e32 v0, v0, v1
	v_ashrrev_i32_e32 v0, 5, v0
	v_mad_u64_u32 v[0:1], null, s14, 3, v[0:1]
	v_ashrrev_i32_e32 v1, 31, v0
	v_lshlrev_b64 v[0:1], 2, v[0:1]
	s_waitcnt lgkmcnt(0)
	v_add_co_u32 v0, vcc_lo, s12, v0
	v_add_co_ci_u32_e64 v1, null, s13, v1, vcc_lo
	global_load_dwordx2 v[0:1], v[0:1], off
	s_waitcnt vmcnt(0)
	v_perm_b32 v0, v0, v1, 0x2010007
	v_and_b32_e32 v4, 0xfff, v0
	v_mov_b32_e32 v0, s3
.LBB2_18:
	s_or_b32 exec_lo, exec_lo, s2
.LBB2_19:
	s_or_saveexec_b32 s1, s1
	s_waitcnt vmcnt(0)
	v_lshl_add_u32 v3, v12, 1, v12
	v_mul_u32_u24_e32 v17, 3, v2
	v_ashrrev_i32_e32 v5, 31, v3
	s_xor_b32 exec_lo, exec_lo, s1
	s_cbranch_execz .LBB2_21
; %bb.20:
	v_lshrrev_b32_e32 v0, 27, v5
	s_mul_i32 s2, s10, s9
	s_ashr_i32 s3, s2, 31
	s_lshr_b32 s3, s3, 27
	v_add_nc_u32_e32 v0, v3, v0
	s_add_i32 s3, s2, s3
	s_ashr_i32 s3, s3, 5
	v_ashrrev_i32_e32 v0, 5, v0
	v_mad_u64_u32 v[0:1], null, s3, 3, v[0:1]
	v_ashrrev_i32_e32 v1, 31, v0
	v_lshlrev_b64 v[0:1], 2, v[0:1]
	s_waitcnt lgkmcnt(0)
	v_add_co_u32 v0, vcc_lo, s12, v0
	v_add_co_ci_u32_e64 v1, null, s13, v1, vcc_lo
	global_load_dword v0, v[0:1], off
	s_waitcnt vmcnt(0)
	v_lshrrev_b32_e32 v4, v17, v0
	v_mov_b32_e32 v0, s2
.LBB2_21:
	s_or_b32 exec_lo, exec_lo, s1
	s_add_i32 s1, s20, 0x80
	v_cvt_f64_i32_e32 v[8:9], s8
	v_cvt_f64_u32_e32 v[6:7], s1
	s_waitcnt lgkmcnt(0)
	s_barrier
	buffer_gl0_inv
	v_min_f64 v[6:7], v[6:7], v[8:9]
	v_cvt_i32_f64_e32 v18, v[6:7]
	v_cmp_ge_i32_e32 vcc_lo, s20, v18
	s_cbranch_vccnz .LBB2_46
; %bb.22:
	s_clause 0x2
	s_load_dwordx2 s[14:15], s[4:5], 0x18
	s_load_dwordx2 s[16:17], s[4:5], 0x30
	;; [unrolled: 1-line block ×3, first 2 shown]
	v_add_nc_u32_e32 v0, v0, v12
	s_lshr_b32 s5, s20, 5
	v_ashrrev_i32_e32 v13, 31, v12
	v_bfe_u32 v25, v4, 9, 3
	v_bfe_u32 v24, v4, 6, 3
	v_ashrrev_i32_e32 v1, 31, v0
	v_bfe_u32 v23, v4, 3, 3
	v_and_b32_e32 v22, 7, v4
	v_lshrrev_b32_e32 v4, 27, v5
	s_mul_i32 s5, s5, s9
	v_lshlrev_b64 v[0:1], 1, v[0:1]
	s_mul_i32 s24, s5, 3
	v_cmp_ne_u32_e64 s1, 8, v2
	v_cmp_lt_u32_e64 s2, 16, v2
	v_cmp_ne_u32_e64 s3, 20, v2
	v_mad_u32_u24 v20, v2, 3, 0xffffffc0
	v_mad_u32_u24 v21, v2, 3, 0xffffffe0
	s_waitcnt lgkmcnt(0)
	v_add_co_u32 v0, vcc_lo, s14, v0
	v_add_co_ci_u32_e64 v1, null, s15, v1, vcc_lo
	v_add_nc_u32_e32 v4, v3, v4
	s_ashr_i32 s25, s24, 31
	v_lshlrev_b64 v[2:3], 2, v[12:13]
	global_load_dwordx2 v[0:1], v[0:1], off
	s_lshl_b64 s[24:25], s[24:25], 2
	s_add_i32 s8, s6, s20
	s_add_u32 s5, s18, s24
	s_addc_u32 s18, s19, s25
	s_bitcmp1_b32 s11, 0
	v_add_co_u32 v14, vcc_lo, s5, v2
	v_mov_b32_e32 v19, 0x10001
	v_add_co_ci_u32_e64 v15, null, s18, v3, vcc_lo
	s_cselect_b32 s18, -1, 0
	s_mul_i32 s26, s7, s9
	s_xor_b32 s18, s18, -1
	s_add_i32 s19, s20, 30
	s_add_i32 s24, s20, 28
	;; [unrolled: 1-line block ×30, first 2 shown]
	v_ashrrev_i32_e32 v13, 5, v4
	v_cndmask_b32_e64 v26, 0, 1, s18
	s_mov_b32 s4, s9
	s_ashr_i32 s5, s9, 31
	s_lshl_b32 s26, s26, 7
	s_mul_i32 s19, s9, s19
	s_mul_i32 s24, s9, s24
	;; [unrolled: 1-line block ×30, first 2 shown]
	s_mul_hi_i32 s22, s9, 12
	s_mul_i32 s23, s9, 12
	s_mov_b32 s7, 0
	s_lshl_b32 s11, s9, 5
	s_add_i32 s18, s26, s53
	s_lshl_b64 s[4:5], s[4:5], 2
	s_add_i32 s19, s19, s53
	s_add_i32 s24, s24, s53
	s_add_i32 s25, s25, s53
	s_add_i32 s26, s27, s53
	s_add_i32 s27, s28, s53
	s_add_i32 s28, s29, s53
	s_add_i32 s29, s30, s53
	s_add_i32 s30, s31, s53
	s_add_i32 s31, s33, s53
	s_add_i32 s33, s34, s53
	s_add_i32 s34, s35, s53
	s_add_i32 s35, s36, s53
	s_add_i32 s36, s37, s53
	s_add_i32 s37, s38, s53
	s_add_i32 s38, s39, s53
	s_add_i32 s39, s40, s53
	s_add_i32 s40, s41, s53
	s_add_i32 s41, s42, s53
	s_add_i32 s42, s43, s53
	s_add_i32 s43, s44, s53
	s_add_i32 s44, s45, s53
	s_add_i32 s45, s46, s53
	s_add_i32 s46, s47, s53
	s_add_i32 s47, s48, s53
	s_add_i32 s48, s49, s53
	s_add_i32 s49, s50, s53
	s_add_i32 s50, s51, s53
	s_add_i32 s51, s52, s53
	s_add_i32 s52, s54, s53
	s_add_i32 s53, s55, s53
	s_mov_b32 s54, 0xe400e400
	s_mov_b32 s55, 0x70007
	;; [unrolled: 1-line block ×4, first 2 shown]
	s_waitcnt vmcnt(0)
	v_mul_u32_u24_sdwa v27, v1, v19 dst_sel:DWORD dst_unused:UNUSED_PAD src0_sel:WORD_1 src1_sel:DWORD
	v_mul_u32_u24_sdwa v28, v1, v19 dst_sel:DWORD dst_unused:UNUSED_PAD src0_sel:WORD_0 src1_sel:DWORD
	v_mul_u32_u24_sdwa v29, v0, v19 dst_sel:DWORD dst_unused:UNUSED_PAD src0_sel:WORD_1 src1_sel:DWORD
	v_mul_u32_u24_sdwa v30, v0, v19 dst_sel:DWORD dst_unused:UNUSED_PAD src0_sel:WORD_0 src1_sel:DWORD
	s_branch .LBB2_24
.LBB2_23:                               ;   in Loop: Header=BB2_24 Depth=1
	v_mad_u64_u32 v[3:4], null, v3, s9, v[12:13]
	v_lshrrev_b32_e32 v5, 16, v2
	v_add_co_u32 v14, vcc_lo, v14, s23
	v_lshrrev_b32_e32 v6, 16, v109
	s_add_i32 s20, s20, 32
	v_add_co_ci_u32_e64 v15, null, s22, v15, vcc_lo
	v_ashrrev_i32_e32 v4, 31, v3
	v_and_or_b32 v0, 0xffff0000, v0, v5
	v_and_or_b32 v1, 0xffff0000, v1, v6
	s_add_i32 s19, s19, s11
	s_add_i32 s24, s24, s11
	v_lshlrev_b64 v[2:3], 1, v[3:4]
	s_add_i32 s25, s25, s11
	s_add_i32 s26, s26, s11
	;; [unrolled: 1-line block ×5, first 2 shown]
	v_add_co_u32 v2, vcc_lo, s16, v2
	v_add_co_ci_u32_e64 v3, null, s17, v3, vcc_lo
	v_cmp_lt_i32_e32 vcc_lo, s20, v18
	s_add_i32 s30, s30, s11
	s_add_i32 s31, s31, s11
	;; [unrolled: 1-line block ×24, first 2 shown]
	s_addk_i32 s7, 0x80
	global_store_dwordx2 v[2:3], v[0:1], off
	s_cbranch_vccz .LBB2_46
.LBB2_24:                               ; =>This Inner Loop Header: Depth=1
	s_cmp_lg_u32 s20, s8
	s_cbranch_scc1 .LBB2_42
; %bb.25:                               ;   in Loop: Header=BB2_24 Depth=1
	s_add_i32 s10, s10, 1
                                        ; implicit-def: $vgpr2
	s_mul_i32 s58, s10, s9
	s_ashr_i32 s59, s58, 31
	s_lshr_b32 s59, s59, 27
	s_add_i32 s59, s58, s59
	s_ashr_i32 s59, s59, 5
	v_mad_u64_u32 v[0:1], null, s59, 3, v[13:14]
	v_ashrrev_i32_e32 v1, 31, v0
	v_lshlrev_b64 v[0:1], 2, v[0:1]
	v_add_co_u32 v0, vcc_lo, s12, v0
	v_add_co_ci_u32_e64 v1, null, s13, v1, vcc_lo
	global_load_dword v3, v[0:1], off
	s_and_saveexec_b32 s59, s0
	s_xor_b32 s59, exec_lo, s59
	s_cbranch_execz .LBB2_39
; %bb.26:                               ;   in Loop: Header=BB2_24 Depth=1
                                        ; implicit-def: $vgpr2
	s_and_saveexec_b32 s60, s1
	s_xor_b32 s60, exec_lo, s60
	s_cbranch_execz .LBB2_36
; %bb.27:                               ;   in Loop: Header=BB2_24 Depth=1
                                        ; implicit-def: $vgpr2
	;; [unrolled: 5-line block ×3, first 2 shown]
	s_and_saveexec_b32 s62, s3
	s_xor_b32 s62, exec_lo, s62
	s_cbranch_execz .LBB2_30
; %bb.29:                               ;   in Loop: Header=BB2_24 Depth=1
	s_waitcnt vmcnt(0)
	v_lshrrev_b32_e32 v2, v20, v3
                                        ; implicit-def: $vgpr0_vgpr1
                                        ; implicit-def: $vgpr3
.LBB2_30:                               ;   in Loop: Header=BB2_24 Depth=1
	s_andn2_saveexec_b32 s62, s62
	s_cbranch_execz .LBB2_32
; %bb.31:                               ;   in Loop: Header=BB2_24 Depth=1
	global_load_dword v0, v[0:1], off offset:4
	s_waitcnt vmcnt(0)
	v_alignbit_b32 v0, v0, v3, 28
	v_and_b32_e32 v2, 0xfff, v0
.LBB2_32:                               ;   in Loop: Header=BB2_24 Depth=1
	s_or_b32 exec_lo, exec_lo, s62
                                        ; implicit-def: $vgpr3
.LBB2_33:                               ;   in Loop: Header=BB2_24 Depth=1
	s_andn2_saveexec_b32 s61, s61
	s_cbranch_execz .LBB2_35
; %bb.34:                               ;   in Loop: Header=BB2_24 Depth=1
	s_waitcnt vmcnt(0)
	v_lshrrev_b32_e32 v2, v21, v3
.LBB2_35:                               ;   in Loop: Header=BB2_24 Depth=1
	s_or_b32 exec_lo, exec_lo, s61
                                        ; implicit-def: $vgpr0_vgpr1
                                        ; implicit-def: $vgpr3
.LBB2_36:                               ;   in Loop: Header=BB2_24 Depth=1
	s_andn2_saveexec_b32 s60, s60
	s_cbranch_execz .LBB2_38
; %bb.37:                               ;   in Loop: Header=BB2_24 Depth=1
	global_load_dword v0, v[0:1], off offset:4
	s_waitcnt vmcnt(0)
	v_perm_b32 v0, v3, v0, 0x2010007
	v_and_b32_e32 v2, 0xfff, v0
.LBB2_38:                               ;   in Loop: Header=BB2_24 Depth=1
	s_or_b32 exec_lo, exec_lo, s60
                                        ; implicit-def: $vgpr3
.LBB2_39:                               ;   in Loop: Header=BB2_24 Depth=1
	s_andn2_saveexec_b32 s59, s59
	s_cbranch_execz .LBB2_41
; %bb.40:                               ;   in Loop: Header=BB2_24 Depth=1
	s_waitcnt vmcnt(0)
	v_lshrrev_b32_e32 v2, v17, v3
.LBB2_41:                               ;   in Loop: Header=BB2_24 Depth=1
	s_or_b32 exec_lo, exec_lo, s59
	v_add_nc_u32_e32 v0, s58, v12
	v_and_b32_e32 v22, 7, v2
	v_bfe_u32 v23, v2, 3, 3
	v_bfe_u32 v24, v2, 6, 3
	;; [unrolled: 1-line block ×3, first 2 shown]
	v_ashrrev_i32_e32 v1, 31, v0
	s_add_i32 s8, s8, s6
	v_lshlrev_b64 v[0:1], 1, v[0:1]
	v_add_co_u32 v0, vcc_lo, s14, v0
	v_add_co_ci_u32_e64 v1, null, s15, v1, vcc_lo
	global_load_dwordx2 v[0:1], v[0:1], off
	s_waitcnt vmcnt(0)
	v_mul_u32_u24_sdwa v30, v0, v19 dst_sel:DWORD dst_unused:UNUSED_PAD src0_sel:WORD_0 src1_sel:DWORD
	v_mul_u32_u24_sdwa v29, v0, v19 dst_sel:DWORD dst_unused:UNUSED_PAD src0_sel:WORD_1 src1_sel:DWORD
	v_mul_u32_u24_sdwa v28, v1, v19 dst_sel:DWORD dst_unused:UNUSED_PAD src0_sel:WORD_0 src1_sel:DWORD
	v_mul_u32_u24_sdwa v27, v1, v19 dst_sel:DWORD dst_unused:UNUSED_PAD src0_sel:WORD_1 src1_sel:DWORD
.LBB2_42:                               ;   in Loop: Header=BB2_24 Depth=1
	v_add_co_u32 v0, vcc_lo, v14, s4
	v_add_co_ci_u32_e64 v1, null, s5, v15, vcc_lo
	global_load_dwordx4 v[8:11], v[14:15], off
	v_add_nc_u32_e32 v34, v22, v26
	v_add_nc_u32_e32 v35, v23, v26
	global_load_dwordx4 v[4:7], v[0:1], off
	v_add_co_u32 v0, vcc_lo, v0, s4
	v_add_co_ci_u32_e64 v1, null, s5, v1, vcc_lo
	v_add_nc_u32_e32 v36, v24, v26
	v_add_nc_u32_e32 v37, v25, v26
	v_mad_u32_u24 v31, 0x10001, v34, s54
	global_load_dwordx4 v[0:3], v[0:1], off
	v_mad_u32_u24 v32, 0x10001, v35, s54
	v_mad_u32_u24 v33, 0x10001, v36, s54
	v_cvt_f32_u32_e32 v38, v34
	v_mad_u32_u24 v34, 0x10001, v37, s54
	v_cvt_f32_u32_e32 v35, v35
	v_cvt_f32_u32_e32 v36, v36
	;; [unrolled: 1-line block ×3, first 2 shown]
	v_cvt_f16_f32_e32 v38, v38
	s_andn2_b32 vcc_lo, exec_lo, s21
	v_cvt_f16_f32_e32 v35, v35
	v_cvt_f16_f32_e32 v36, v36
	;; [unrolled: 1-line block ×3, first 2 shown]
	v_sub_f16_e32 v39, 0xd800, v38
	v_sub_f16_e32 v38, 0xcc00, v38
	;; [unrolled: 1-line block ×7, first 2 shown]
	v_mul_u32_u24_sdwa v39, v39, v19 dst_sel:DWORD dst_unused:UNUSED_PAD src0_sel:WORD_0 src1_sel:DWORD
	v_mul_u32_u24_sdwa v40, v40, v19 dst_sel:DWORD dst_unused:UNUSED_PAD src0_sel:WORD_0 src1_sel:DWORD
	;; [unrolled: 1-line block ×4, first 2 shown]
	v_sub_f16_e32 v37, 0xcc00, v37
	v_mul_u32_u24_sdwa v38, v38, v19 dst_sel:DWORD dst_unused:UNUSED_PAD src0_sel:WORD_0 src1_sel:DWORD
	v_mul_u32_u24_sdwa v35, v35, v19 dst_sel:DWORD dst_unused:UNUSED_PAD src0_sel:WORD_0 src1_sel:DWORD
	;; [unrolled: 1-line block ×4, first 2 shown]
	s_waitcnt vmcnt(2)
	v_and_or_b32 v43, v8, s55, 0x64006400
	v_lshrrev_b32_e32 v48, 6, v9
	v_and_or_b32 v49, v10, s55, 0x64006400
	v_lshrrev_b32_e32 v51, 6, v10
	s_waitcnt vmcnt(1)
	v_and_or_b32 v55, v4, s55, 0x64006400
	v_and_or_b32 v56, v4, s56, 0x64006400
	v_lshrrev_b32_e32 v57, 6, v4
	v_lshrrev_b32_e32 v4, 14, v4
	v_and_or_b32 v58, v5, s55, 0x64006400
	v_and_or_b32 v59, v5, s56, 0x64006400
	v_lshrrev_b32_e32 v60, 6, v5
	v_lshrrev_b32_e32 v5, 14, v5
	;; [unrolled: 4-line block ×4, first 2 shown]
	v_and_or_b32 v44, v8, s56, 0x64006400
	v_lshrrev_b32_e32 v45, 6, v8
	v_lshrrev_b32_e32 v8, 15, v8
	v_and_or_b32 v46, v9, s55, 0x64006400
	v_and_or_b32 v47, v9, s56, 0x64006400
	v_lshrrev_b32_e32 v9, 15, v9
	v_and_or_b32 v50, v10, s56, 0x64006400
	v_lshrrev_b32_e32 v10, 15, v10
	v_and_or_b32 v52, v11, s55, 0x64006400
	v_and_or_b32 v53, v11, s56, 0x64006400
	v_lshrrev_b32_e32 v54, 6, v11
	v_lshrrev_b32_e32 v11, 15, v11
	v_pk_add_f16 v43, v31, v43
	v_pk_add_f16 v49, v33, v49
	v_and_or_b32 v69, v48, s56, 0x64006400
	v_and_or_b32 v70, v48, s57, 0x64006400
	;; [unrolled: 1-line block ×6, first 2 shown]
	s_waitcnt vmcnt(0)
	v_and_or_b32 v75, v0, s55, 0x64006400
	v_and_or_b32 v76, v0, s56, 0x64006400
	v_lshrrev_b32_e32 v77, 6, v0
	v_lshrrev_b32_e32 v0, 13, v0
	v_and_or_b32 v78, v1, s55, 0x64006400
	v_and_or_b32 v79, v1, s56, 0x64006400
	v_lshrrev_b32_e32 v80, 6, v1
	v_lshrrev_b32_e32 v1, 13, v1
	;; [unrolled: 4-line block ×4, first 2 shown]
	v_and_b32_e32 v4, 0x20002, v4
	v_and_b32_e32 v5, 0x20002, v5
	;; [unrolled: 1-line block ×4, first 2 shown]
	v_pk_add_f16 v46, v32, v46
	v_pk_add_f16 v52, v34, v52
	v_pk_fma_f16 v44, 0x3000, v44, v39 op_sel_hi:[0,1,1]
	v_and_or_b32 v67, v45, s56, 0x64006400
	v_and_or_b32 v68, v45, s57, 0x64006400
	v_pk_fma_f16 v47, 0x3000, v47, v40 op_sel_hi:[0,1,1]
	v_pk_fma_f16 v50, 0x3000, v50, v41 op_sel_hi:[0,1,1]
	;; [unrolled: 1-line block ×3, first 2 shown]
	v_and_or_b32 v73, v54, s56, 0x64006400
	v_and_or_b32 v74, v54, s57, 0x64006400
	;; [unrolled: 1-line block ×4, first 2 shown]
	v_pk_mul_f16 v43, v30, v43
	v_pk_mul_f16 v49, v28, v49
	v_and_or_b32 v87, v57, s56, 0x64006400
	v_and_or_b32 v88, v57, s57, 0x64006400
	;; [unrolled: 1-line block ×5, first 2 shown]
	v_pk_add_f16 v48, v32, v48
	v_and_or_b32 v63, v63, s55, 0x64006400
	v_pk_add_f16 v51, v33, v51
	v_and_or_b32 v8, 0x10001, v8, v4
	v_and_or_b32 v9, 0x10001, v9, v5
	;; [unrolled: 1-line block ×4, first 2 shown]
	v_and_b32_e32 v0, 0x40004, v0
	v_and_b32_e32 v1, 0x40004, v1
	;; [unrolled: 1-line block ×4, first 2 shown]
	v_pk_mul_f16 v46, v29, v46
	v_pk_mul_f16 v52, v27, v52
	v_pk_fma_f16 v67, 0x3000, v67, v39 op_sel_hi:[0,1,1]
	v_pk_fma_f16 v56, 0x3000, v56, v39 op_sel_hi:[0,1,1]
	;; [unrolled: 1-line block ×4, first 2 shown]
	v_and_or_b32 v90, v60, s56, 0x64006400
	v_pk_fma_f16 v70, 0x2400, v70, v35 op_sel_hi:[0,1,1]
	v_and_or_b32 v92, v60, s57, 0x64006400
	v_pk_fma_f16 v71, 0x3000, v71, v41 op_sel_hi:[0,1,1]
	v_pk_fma_f16 v62, 0x3000, v62, v41 op_sel_hi:[0,1,1]
	;; [unrolled: 1-line block ×3, first 2 shown]
	v_and_or_b32 v95, v66, s56, 0x64006400
	v_and_or_b32 v96, v66, s57, 0x64006400
	v_pk_add_f16 v45, v31, v45
	v_pk_add_f16 v55, v31, v55
	v_and_or_b32 v60, v60, s55, 0x64006400
	v_pk_add_f16 v58, v32, v58
	v_pk_add_f16 v61, v33, v61
	v_and_or_b32 v66, v66, s55, 0x64006400
	v_pk_add_f16 v54, v34, v54
	v_pk_mul_f16 v44, v30, v44
	v_pk_mul_f16 v89, v29, v47
	;; [unrolled: 1-line block ×4, first 2 shown]
	v_and_b32_e32 v50, 0xffff, v43
	v_and_b32_e32 v53, 0xffff, v49
	v_lshrrev_b32_e32 v43, 16, v43
	v_pk_fma_f16 v97, 0x3000, v87, v39 op_sel_hi:[0,1,1]
	v_pk_fma_f16 v107, 0x3000, v76, v39 op_sel_hi:[0,1,1]
	v_and_or_b32 v76, v77, s56, 0x64006400
	v_pk_fma_f16 v98, 0x2400, v88, v38 op_sel_hi:[0,1,1]
	v_and_or_b32 v99, v77, s57, 0x64006400
	;; [unrolled: 2-line block ×3, first 2 shown]
	v_and_or_b32 v100, v80, s57, 0x64006400
	v_pk_fma_f16 v93, 0x3000, v93, v41 op_sel_hi:[0,1,1]
	v_pk_fma_f16 v109, 0x3000, v82, v41 op_sel_hi:[0,1,1]
	v_and_or_b32 v82, v83, s56, 0x64006400
	v_pk_fma_f16 v94, 0x2400, v94, v36 op_sel_hi:[0,1,1]
	v_and_or_b32 v101, v83, s57, 0x64006400
	;; [unrolled: 2-line block ×3, first 2 shown]
	v_and_or_b32 v102, v86, s57, 0x64006400
	v_and_or_b32 v111, v77, s55, 0x64006400
	v_pk_add_f16 v57, v31, v57
	v_pk_add_f16 v75, v31, v75
	v_and_or_b32 v80, v80, s55, 0x64006400
	v_pk_add_f16 v112, v32, v78
	v_and_or_b32 v113, v83, s55, 0x64006400
	v_pk_add_f16 v114, v33, v63
	v_pk_add_f16 v81, v33, v81
	v_and_or_b32 v86, v86, s55, 0x64006400
	v_pk_mul_f16 v87, v29, v48
	v_pk_mul_f16 v48, v28, v51
	v_or3_b32 v0, v8, v0, 0x64006400
	v_or3_b32 v1, v9, v1, 0x64006400
	;; [unrolled: 1-line block ×4, first 2 shown]
	v_pk_fma_f16 v59, 0x3000, v59, v40 op_sel_hi:[0,1,1]
	v_pk_fma_f16 v73, 0x3000, v73, v42 op_sel_hi:[0,1,1]
	;; [unrolled: 1-line block ×4, first 2 shown]
	v_pk_add_f16 v64, v34, v64
	v_lshrrev_b32_e32 v49, 16, v49
	v_pk_fma_f16 v90, 0x3000, v90, v40 op_sel_hi:[0,1,1]
	v_pk_fma_f16 v92, 0x2400, v92, v35 op_sel_hi:[0,1,1]
	;; [unrolled: 1-line block ×4, first 2 shown]
	v_pk_add_f16 v60, v32, v60
	v_pk_add_f16 v66, v34, v66
	;; [unrolled: 1-line block ×3, first 2 shown]
	v_pk_mul_f16 v116, v30, v45
	v_pk_mul_f16 v88, v27, v54
	;; [unrolled: 1-line block ×13, first 2 shown]
	v_and_b32_e32 v106, 0xffff, v44
	v_lshrrev_b32_e32 v103, 16, v44
	v_and_b32_e32 v105, 0xffff, v47
	v_lshrrev_b32_e32 v104, 16, v47
	v_lshl_or_b32 v7, v52, 16, v53
	v_and_or_b32 v4, 0xffff0000, v46, v43
	v_pk_fma_f16 v8, 0x3000, v76, v39 op_sel_hi:[0,1,1]
	v_pk_fma_f16 v117, 0x2400, v99, v38 op_sel_hi:[0,1,1]
	;; [unrolled: 1-line block ×8, first 2 shown]
	v_pk_add_f16 v35, v31, v111
	v_pk_add_f16 v36, v32, v80
	;; [unrolled: 1-line block ×4, first 2 shown]
	v_pk_mul_f16 v39, v30, v57
	v_pk_mul_f16 v40, v28, v114
	;; [unrolled: 1-line block ×9, first 2 shown]
	v_and_b32_e32 v102, 0xffff, v48
	v_lshrrev_b32_e32 v100, 16, v48
	v_pk_mul_f16 v47, v30, v107
	v_pk_mul_f16 v43, v29, v108
	;; [unrolled: 1-line block ×4, first 2 shown]
	v_pk_add_f16 v109, v31, v0
	v_pk_add_f16 v107, v32, v1
	;; [unrolled: 1-line block ×4, first 2 shown]
	v_pk_mul_f16 v84, v27, v73
	v_pk_mul_f16 v78, v27, v74
	;; [unrolled: 1-line block ×5, first 2 shown]
	v_lshl_or_b32 v6, v46, 16, v50
	v_and_or_b32 v5, 0xffff0000, v52, v49
	v_pk_mul_f16 v59, v29, v60
	v_pk_mul_f16 v61, v27, v66
	;; [unrolled: 1-line block ×7, first 2 shown]
	v_and_b32_e32 v101, 0xffff, v116
	v_lshrrev_b32_e32 v99, 16, v116
	v_and_b32_e32 v97, 0xffff, v54
	v_lshrrev_b32_e32 v95, 16, v54
	;; [unrolled: 2-line block ×17, first 2 shown]
	v_pk_mul_f16 v42, v30, v35
	v_pk_mul_f16 v40, v29, v36
	;; [unrolled: 1-line block ×16, first 2 shown]
	s_cbranch_vccnz .LBB2_44
; %bb.43:                               ;   in Loop: Header=BB2_24 Depth=1
	v_mov_b32_e32 v111, s7
	v_lshl_or_b32 v120, v89, 16, v106
	v_lshl_or_b32 v121, v91, 16, v105
	ds_read_b128 v[0:3], v111
	ds_read_b128 v[112:115], v111 offset:16
	s_waitcnt lgkmcnt(1)
	v_mad_u64_u32 v[116:117], null, v0, s9, v[12:13]
	v_mad_u64_u32 v[0:1], null, v1, s9, v[12:13]
	;; [unrolled: 1-line block ×4, first 2 shown]
	v_ashrrev_i32_e32 v117, 31, v116
	s_waitcnt lgkmcnt(0)
	v_mad_u64_u32 v[122:123], null, v112, s9, v[12:13]
	v_ashrrev_i32_e32 v1, 31, v0
	v_ashrrev_i32_e32 v119, 31, v118
	v_lshlrev_b64 v[116:117], 1, v[116:117]
	v_ashrrev_i32_e32 v3, 31, v2
	v_mad_u64_u32 v[112:113], null, v113, s9, v[12:13]
	v_lshlrev_b64 v[0:1], 1, v[0:1]
	v_lshlrev_b64 v[118:119], 1, v[118:119]
	v_add_co_u32 v116, vcc_lo, s16, v116
	v_add_co_ci_u32_e64 v117, null, s17, v117, vcc_lo
	v_add_co_u32 v0, vcc_lo, s16, v0
	v_add_co_ci_u32_e64 v1, null, s17, v1, vcc_lo
	;; [unrolled: 2-line block ×3, first 2 shown]
	v_ashrrev_i32_e32 v123, 31, v122
	v_lshlrev_b64 v[2:3], 1, v[2:3]
	global_store_dwordx2 v[116:117], v[6:7], off
	global_store_dwordx2 v[0:1], v[4:5], off
	global_store_dwordx2 v[118:119], v[120:121], off
	v_lshlrev_b64 v[118:119], 1, v[122:123]
	v_and_or_b32 v116, 0xffff0000, v89, v103
	v_add_co_u32 v2, vcc_lo, s16, v2
	v_and_or_b32 v117, 0xffff0000, v91, v104
	v_add_co_ci_u32_e64 v3, null, s17, v3, vcc_lo
	v_add_co_u32 v120, vcc_lo, s16, v118
	v_mad_u64_u32 v[122:123], null, v114, s9, v[12:13]
	v_add_co_ci_u32_e64 v121, null, s17, v119, vcc_lo
	v_ashrrev_i32_e32 v113, 31, v112
	global_store_dwordx2 v[2:3], v[116:117], off
	ds_read_b128 v[116:119], v111 offset:32
	v_lshl_or_b32 v0, v87, 16, v101
	v_lshl_or_b32 v1, v88, 16, v102
	v_lshlrev_b64 v[2:3], 1, v[112:113]
	v_ashrrev_i32_e32 v123, 31, v122
	v_and_or_b32 v112, 0xffff0000, v87, v99
	v_and_or_b32 v113, 0xffff0000, v88, v100
	global_store_dwordx2 v[120:121], v[0:1], off
	v_mad_u64_u32 v[114:115], null, v115, s9, v[12:13]
	v_add_co_u32 v120, vcc_lo, s16, v2
	v_lshlrev_b64 v[122:123], 1, v[122:123]
	v_add_co_ci_u32_e64 v121, null, s17, v3, vcc_lo
	ds_read_b128 v[0:3], v111 offset:48
	v_ashrrev_i32_e32 v115, 31, v114
	global_store_dwordx2 v[120:121], v[112:113], off
	v_add_co_u32 v120, vcc_lo, s16, v122
	v_add_co_ci_u32_e64 v121, null, s17, v123, vcc_lo
	s_waitcnt lgkmcnt(1)
	v_mad_u64_u32 v[122:123], null, v116, s9, v[12:13]
	v_lshlrev_b64 v[114:115], 1, v[114:115]
	v_lshl_or_b32 v112, v83, 16, v97
	v_lshl_or_b32 v113, v84, 16, v98
	v_mad_u64_u32 v[116:117], null, v117, s9, v[12:13]
	v_ashrrev_i32_e32 v123, 31, v122
	v_add_co_u32 v114, vcc_lo, s16, v114
	global_store_dwordx2 v[120:121], v[112:113], off
	v_and_or_b32 v112, 0xffff0000, v83, v95
	v_lshlrev_b64 v[120:121], 1, v[122:123]
	v_and_or_b32 v113, 0xffff0000, v84, v96
	v_add_co_ci_u32_e64 v115, null, s17, v115, vcc_lo
	v_ashrrev_i32_e32 v117, 31, v116
	v_lshl_or_b32 v122, v67, 16, v85
	v_lshl_or_b32 v123, v68, 16, v86
	global_store_dwordx2 v[114:115], v[112:113], off
	v_add_co_u32 v114, vcc_lo, s16, v120
	v_add_co_ci_u32_e64 v115, null, s17, v121, vcc_lo
	v_mad_u64_u32 v[120:121], null, v118, s9, v[12:13]
	v_lshlrev_b64 v[116:117], 1, v[116:117]
	v_lshl_or_b32 v112, v77, 16, v93
	v_lshl_or_b32 v113, v78, 16, v94
	v_mad_u64_u32 v[118:119], null, v119, s9, v[12:13]
	v_ashrrev_i32_e32 v121, 31, v120
	global_store_dwordx2 v[114:115], v[112:113], off
	v_add_co_u32 v114, vcc_lo, s16, v116
	v_add_co_ci_u32_e64 v115, null, s17, v117, vcc_lo
	v_lshlrev_b64 v[116:117], 1, v[120:121]
	s_waitcnt lgkmcnt(0)
	v_mad_u64_u32 v[120:121], null, v0, s9, v[12:13]
	v_and_or_b32 v112, 0xffff0000, v77, v90
	v_and_or_b32 v113, 0xffff0000, v78, v92
	v_ashrrev_i32_e32 v119, 31, v118
	v_add_co_u32 v116, vcc_lo, s16, v116
	v_add_co_ci_u32_e64 v117, null, s17, v117, vcc_lo
	v_ashrrev_i32_e32 v121, 31, v120
	global_store_dwordx2 v[114:115], v[112:113], off
	v_lshlrev_b64 v[114:115], 1, v[118:119]
	global_store_dwordx2 v[116:117], v[122:123], off
	v_and_or_b32 v112, 0xffff0000, v67, v81
	v_lshlrev_b64 v[116:117], 1, v[120:121]
	v_and_or_b32 v113, 0xffff0000, v68, v82
	v_mad_u64_u32 v[0:1], null, v1, s9, v[12:13]
	v_add_co_u32 v114, vcc_lo, s16, v114
	v_add_co_ci_u32_e64 v115, null, s17, v115, vcc_lo
	v_add_co_u32 v116, vcc_lo, s16, v116
	v_lshl_or_b32 v118, v63, 16, v79
	v_lshl_or_b32 v119, v64, 16, v80
	v_add_co_ci_u32_e64 v117, null, s17, v117, vcc_lo
	v_mad_u64_u32 v[120:121], null, v2, s9, v[12:13]
	global_store_dwordx2 v[114:115], v[112:113], off
	global_store_dwordx2 v[116:117], v[118:119], off
	ds_read_b128 v[112:115], v111 offset:64
	v_ashrrev_i32_e32 v1, 31, v0
	v_and_or_b32 v116, 0xffff0000, v63, v75
	v_and_or_b32 v117, 0xffff0000, v64, v76
	v_ashrrev_i32_e32 v121, 31, v120
	v_lshlrev_b64 v[0:1], 1, v[0:1]
	v_lshlrev_b64 v[118:119], 1, v[120:121]
	v_mad_u64_u32 v[120:121], null, v3, s9, v[12:13]
	v_add_co_u32 v0, vcc_lo, s16, v0
	v_add_co_ci_u32_e64 v1, null, s17, v1, vcc_lo
	v_add_co_u32 v118, vcc_lo, s16, v118
	v_ashrrev_i32_e32 v121, 31, v120
	global_store_dwordx2 v[0:1], v[116:117], off
	ds_read_b128 v[0:3], v111 offset:80
	s_waitcnt lgkmcnt(1)
	v_mad_u64_u32 v[122:123], null, v112, s9, v[12:13]
	v_lshlrev_b64 v[120:121], 1, v[120:121]
	v_lshl_or_b32 v116, v59, 16, v73
	v_lshl_or_b32 v117, v61, 16, v74
	v_add_co_ci_u32_e64 v119, null, s17, v119, vcc_lo
	v_mad_u64_u32 v[112:113], null, v113, s9, v[12:13]
	v_ashrrev_i32_e32 v123, 31, v122
	global_store_dwordx2 v[118:119], v[116:117], off
	v_add_co_u32 v118, vcc_lo, s16, v120
	v_add_co_ci_u32_e64 v119, null, s17, v121, vcc_lo
	v_lshlrev_b64 v[120:121], 1, v[122:123]
	v_and_or_b32 v116, 0xffff0000, v59, v71
	v_and_or_b32 v117, 0xffff0000, v61, v72
	v_ashrrev_i32_e32 v113, 31, v112
	v_lshl_or_b32 v122, v49, 16, v60
	v_lshl_or_b32 v123, v50, 16, v62
	global_store_dwordx2 v[118:119], v[116:117], off
	v_add_co_u32 v118, vcc_lo, s16, v120
	v_add_co_ci_u32_e64 v119, null, s17, v121, vcc_lo
	v_mad_u64_u32 v[120:121], null, v114, s9, v[12:13]
	v_lshl_or_b32 v116, v51, 16, v69
	v_lshl_or_b32 v117, v52, 16, v70
	v_mad_u64_u32 v[114:115], null, v115, s9, v[12:13]
	v_lshlrev_b64 v[112:113], 1, v[112:113]
	v_ashrrev_i32_e32 v121, 31, v120
	global_store_dwordx2 v[118:119], v[116:117], off
	v_and_or_b32 v116, 0xffff0000, v51, v65
	v_and_or_b32 v117, 0xffff0000, v52, v66
	v_add_co_u32 v112, vcc_lo, s16, v112
	v_lshlrev_b64 v[118:119], 1, v[120:121]
	s_waitcnt lgkmcnt(0)
	v_mad_u64_u32 v[120:121], null, v0, s9, v[12:13]
	v_ashrrev_i32_e32 v115, 31, v114
	v_add_co_ci_u32_e64 v113, null, s17, v113, vcc_lo
	v_add_co_u32 v118, vcc_lo, s16, v118
	v_lshlrev_b64 v[114:115], 1, v[114:115]
	v_ashrrev_i32_e32 v121, 31, v120
	global_store_dwordx2 v[112:113], v[116:117], off
	v_mad_u64_u32 v[0:1], null, v1, s9, v[12:13]
	v_add_co_ci_u32_e64 v119, null, s17, v119, vcc_lo
	v_lshlrev_b64 v[116:117], 1, v[120:121]
	v_mad_u64_u32 v[120:121], null, v2, s9, v[12:13]
	v_add_co_u32 v114, vcc_lo, s16, v114
	v_add_co_ci_u32_e64 v115, null, s17, v115, vcc_lo
	v_add_co_u32 v116, vcc_lo, s16, v116
	v_and_or_b32 v112, 0xffff0000, v49, v57
	v_and_or_b32 v113, 0xffff0000, v50, v58
	global_store_dwordx2 v[118:119], v[122:123], off
	v_lshl_or_b32 v118, v45, 16, v55
	v_lshl_or_b32 v119, v46, 16, v56
	v_add_co_ci_u32_e64 v117, null, s17, v117, vcc_lo
	v_ashrrev_i32_e32 v1, 31, v0
	v_ashrrev_i32_e32 v121, 31, v120
	global_store_dwordx2 v[114:115], v[112:113], off
	global_store_dwordx2 v[116:117], v[118:119], off
	ds_read_b128 v[112:115], v111 offset:96
	v_and_b32_e32 v2, 0xffff, v47
	v_lshlrev_b64 v[0:1], 1, v[0:1]
	v_lshlrev_b64 v[118:119], 1, v[120:121]
	v_mad_u64_u32 v[120:121], null, v3, s9, v[12:13]
	v_and_b32_e32 v122, 0xffff, v48
	v_and_or_b32 v116, 0xffff0000, v45, v53
	v_add_co_u32 v0, vcc_lo, s16, v0
	v_add_co_ci_u32_e64 v1, null, s17, v1, vcc_lo
	v_add_co_u32 v118, vcc_lo, s16, v118
	v_and_or_b32 v117, 0xffff0000, v46, v54
	v_ashrrev_i32_e32 v121, 31, v120
	v_lshl_or_b32 v2, v43, 16, v2
	v_lshl_or_b32 v3, v44, 16, v122
	v_add_co_ci_u32_e64 v119, null, s17, v119, vcc_lo
	global_store_dwordx2 v[0:1], v[116:117], off
	global_store_dwordx2 v[118:119], v[2:3], off
	v_lshlrev_b64 v[118:119], 1, v[120:121]
	v_lshrrev_b32_e32 v122, 16, v47
	v_lshrrev_b32_e32 v123, 16, v48
	ds_read_b128 v[0:3], v111 offset:112
	s_waitcnt lgkmcnt(1)
	v_mad_u64_u32 v[111:112], null, v112, s9, v[12:13]
	v_mad_u64_u32 v[120:121], null, v113, s9, v[12:13]
	v_add_co_u32 v118, vcc_lo, s16, v118
	v_and_or_b32 v116, 0xffff0000, v43, v122
	v_and_or_b32 v117, 0xffff0000, v44, v123
	v_add_co_ci_u32_e64 v119, null, s17, v119, vcc_lo
	v_and_b32_e32 v113, 0xffff, v42
	v_ashrrev_i32_e32 v112, 31, v111
	v_and_b32_e32 v122, 0xffff, v41
	global_store_dwordx2 v[118:119], v[116:117], off
	v_ashrrev_i32_e32 v121, 31, v120
	v_lshl_or_b32 v116, v40, 16, v113
	v_lshrrev_b32_e32 v113, 16, v42
	v_lshlrev_b64 v[111:112], 1, v[111:112]
	v_lshl_or_b32 v117, v39, 16, v122
	v_lshrrev_b32_e32 v122, 16, v41
	v_lshlrev_b64 v[118:119], 1, v[120:121]
	v_and_or_b32 v120, 0xffff0000, v40, v113
	v_mad_u64_u32 v[113:114], null, v114, s9, v[12:13]
	v_add_co_u32 v111, vcc_lo, s16, v111
	v_and_or_b32 v121, 0xffff0000, v39, v122
	v_mad_u64_u32 v[122:123], null, v115, s9, v[12:13]
	v_add_co_ci_u32_e64 v112, null, s17, v112, vcc_lo
	v_add_co_u32 v118, vcc_lo, s16, v118
	v_ashrrev_i32_e32 v114, 31, v113
	v_and_b32_e32 v123, 0xffff, v37
	v_add_co_ci_u32_e64 v119, null, s17, v119, vcc_lo
	v_and_b32_e32 v115, 0xffff, v38
	global_store_dwordx2 v[111:112], v[116:117], off
	global_store_dwordx2 v[118:119], v[120:121], off
	v_lshlrev_b64 v[111:112], 1, v[113:114]
	v_lshl_or_b32 v114, v35, 16, v123
	v_ashrrev_i32_e32 v123, 31, v122
	v_lshl_or_b32 v113, v36, 16, v115
	v_lshrrev_b32_e32 v117, 16, v38
	v_lshrrev_b32_e32 v118, 16, v37
	v_add_co_u32 v111, vcc_lo, s16, v111
	v_lshlrev_b64 v[115:116], 1, v[122:123]
	v_add_co_ci_u32_e64 v112, null, s17, v112, vcc_lo
	v_and_or_b32 v117, 0xffff0000, v36, v117
	s_waitcnt lgkmcnt(0)
	v_mad_u64_u32 v[119:120], null, v0, s9, v[12:13]
	v_add_co_u32 v115, vcc_lo, s16, v115
	v_and_or_b32 v118, 0xffff0000, v35, v118
	v_add_co_ci_u32_e64 v116, null, s17, v116, vcc_lo
	v_mad_u64_u32 v[0:1], null, v1, s9, v[12:13]
	global_store_dwordx2 v[111:112], v[113:114], off
	global_store_dwordx2 v[115:116], v[117:118], off
	v_mad_u64_u32 v[115:116], null, v2, s9, v[12:13]
	v_ashrrev_i32_e32 v120, 31, v119
	v_and_b32_e32 v121, 0xffff, v33
	v_pk_mul_f16 v2, v30, v109
	v_ashrrev_i32_e32 v1, 31, v0
	v_pk_mul_f16 v109, v28, v110
	v_lshlrev_b64 v[113:114], 1, v[119:120]
	v_ashrrev_i32_e32 v116, 31, v115
	v_and_b32_e32 v122, 0xffff, v34
	v_lshlrev_b64 v[119:120], 1, v[0:1]
	v_pk_mul_f16 v0, v29, v107
	v_pk_mul_f16 v1, v27, v108
	v_lshlrev_b64 v[107:108], 1, v[115:116]
	v_add_co_u32 v113, vcc_lo, s16, v113
	v_lshl_or_b32 v111, v32, 16, v121
	v_and_b32_e32 v110, 0xffff, v2
	v_and_b32_e32 v121, 0xffff, v109
	v_lshrrev_b32_e32 v117, 16, v33
	v_lshrrev_b32_e32 v118, 16, v34
	v_add_co_ci_u32_e64 v114, null, s17, v114, vcc_lo
	v_add_co_u32 v115, vcc_lo, s16, v119
	v_add_co_ci_u32_e64 v116, null, s17, v120, vcc_lo
	v_add_co_u32 v107, vcc_lo, s16, v107
	v_lshl_or_b32 v112, v31, 16, v122
	v_lshl_or_b32 v119, v0, 16, v110
	;; [unrolled: 1-line block ×3, first 2 shown]
	v_add_co_ci_u32_e64 v108, null, s17, v108, vcc_lo
	v_and_or_b32 v117, 0xffff0000, v32, v117
	v_and_or_b32 v118, 0xffff0000, v31, v118
	global_store_dwordx2 v[113:114], v[111:112], off
	global_store_dwordx2 v[115:116], v[117:118], off
	;; [unrolled: 1-line block ×3, first 2 shown]
	s_cbranch_execnz .LBB2_23
	s_branch .LBB2_45
.LBB2_44:                               ;   in Loop: Header=BB2_24 Depth=1
                                        ; implicit-def: $vgpr3
                                        ; implicit-def: $vgpr1
                                        ; implicit-def: $vgpr109
                                        ; implicit-def: $vgpr0
                                        ; implicit-def: $vgpr2
.LBB2_45:                               ;   in Loop: Header=BB2_24 Depth=1
	v_add_nc_u32_e32 v0, s18, v16
	v_add_nc_u32_e32 v2, s53, v16
	;; [unrolled: 1-line block ×4, first 2 shown]
	v_lshl_or_b32 v109, v89, 16, v106
	v_ashrrev_i32_e32 v1, 31, v0
	v_ashrrev_i32_e32 v3, 31, v2
	;; [unrolled: 1-line block ×4, first 2 shown]
	v_lshl_or_b32 v110, v91, 16, v105
	v_lshlrev_b64 v[0:1], 1, v[0:1]
	v_lshlrev_b64 v[2:3], 1, v[2:3]
	;; [unrolled: 1-line block ×3, first 2 shown]
	v_and_or_b32 v103, 0xffff0000, v89, v103
	v_and_or_b32 v104, 0xffff0000, v91, v104
	v_add_nc_u32_e32 v107, s50, v16
	v_add_co_u32 v0, vcc_lo, s16, v0
	v_add_co_ci_u32_e64 v1, null, s17, v1, vcc_lo
	v_add_co_u32 v2, vcc_lo, s16, v2
	v_add_co_ci_u32_e64 v3, null, s17, v3, vcc_lo
	global_store_dwordx2 v[0:1], v[6:7], off
	v_lshlrev_b64 v[0:1], 1, v[111:112]
	v_add_co_u32 v6, vcc_lo, s16, v105
	v_add_co_ci_u32_e64 v7, null, s17, v106, vcc_lo
	v_add_nc_u32_e32 v105, s49, v16
	v_add_co_u32 v0, vcc_lo, s16, v0
	v_add_co_ci_u32_e64 v1, null, s17, v1, vcc_lo
	global_store_dwordx2 v[2:3], v[4:5], off
	global_store_dwordx2 v[6:7], v[109:110], off
	;; [unrolled: 1-line block ×3, first 2 shown]
	v_add_nc_u32_e32 v0, s47, v16
	v_ashrrev_i32_e32 v106, 31, v105
	v_ashrrev_i32_e32 v108, 31, v107
	v_lshl_or_b32 v4, v87, 16, v101
	v_and_or_b32 v87, 0xffff0000, v87, v99
	v_ashrrev_i32_e32 v1, 31, v0
	v_lshlrev_b64 v[2:3], 1, v[105:106]
	v_lshlrev_b64 v[6:7], 1, v[107:108]
	v_add_nc_u32_e32 v99, s48, v16
	v_add_nc_u32_e32 v101, s45, v16
	v_lshlrev_b64 v[0:1], 1, v[0:1]
	v_lshl_or_b32 v5, v88, 16, v102
	v_add_co_u32 v2, vcc_lo, s16, v2
	v_add_co_ci_u32_e64 v3, null, s17, v3, vcc_lo
	v_add_co_u32 v6, vcc_lo, s16, v6
	v_add_co_ci_u32_e64 v7, null, s17, v7, vcc_lo
	v_add_co_u32 v0, vcc_lo, s16, v0
	v_and_or_b32 v88, 0xffff0000, v88, v100
	v_lshl_or_b32 v97, v83, 16, v97
	v_lshl_or_b32 v98, v84, 16, v98
	v_add_co_ci_u32_e64 v1, null, s17, v1, vcc_lo
	v_ashrrev_i32_e32 v100, 31, v99
	v_ashrrev_i32_e32 v102, 31, v101
	global_store_dwordx2 v[2:3], v[4:5], off
	global_store_dwordx2 v[6:7], v[87:88], off
	;; [unrolled: 1-line block ×3, first 2 shown]
	v_add_nc_u32_e32 v0, s46, v16
	v_lshlrev_b64 v[2:3], 1, v[99:100]
	v_lshlrev_b64 v[6:7], 1, v[101:102]
	v_and_or_b32 v4, 0xffff0000, v83, v95
	v_and_or_b32 v5, 0xffff0000, v84, v96
	v_ashrrev_i32_e32 v1, 31, v0
	v_lshl_or_b32 v83, v77, 16, v93
	v_add_co_u32 v2, vcc_lo, s16, v2
	v_add_co_ci_u32_e64 v3, null, s17, v3, vcc_lo
	v_add_co_u32 v6, vcc_lo, s16, v6
	v_lshlrev_b64 v[0:1], 1, v[0:1]
	v_lshl_or_b32 v84, v78, 16, v94
	v_add_co_ci_u32_e64 v7, null, s17, v7, vcc_lo
	v_add_nc_u32_e32 v87, s43, v16
	global_store_dwordx2 v[2:3], v[4:5], off
	global_store_dwordx2 v[6:7], v[83:84], off
	v_add_nc_u32_e32 v2, s44, v16
	v_add_co_u32 v0, vcc_lo, s16, v0
	v_and_or_b32 v77, 0xffff0000, v77, v90
	v_and_or_b32 v78, 0xffff0000, v78, v92
	v_add_co_ci_u32_e64 v1, null, s17, v1, vcc_lo
	v_ashrrev_i32_e32 v88, 31, v87
	v_ashrrev_i32_e32 v3, 31, v2
	v_add_nc_u32_e32 v6, s41, v16
	global_store_dwordx2 v[0:1], v[77:78], off
	v_lshl_or_b32 v4, v67, 16, v85
	v_lshlrev_b64 v[0:1], 1, v[87:88]
	v_lshlrev_b64 v[2:3], 1, v[2:3]
	v_lshl_or_b32 v5, v68, 16, v86
	v_add_nc_u32_e32 v77, s42, v16
	v_and_or_b32 v67, 0xffff0000, v67, v81
	v_and_or_b32 v68, 0xffff0000, v68, v82
	v_add_co_u32 v0, vcc_lo, s16, v0
	v_add_co_ci_u32_e64 v1, null, s17, v1, vcc_lo
	v_add_co_u32 v2, vcc_lo, s16, v2
	v_add_co_ci_u32_e64 v3, null, s17, v3, vcc_lo
	v_ashrrev_i32_e32 v7, 31, v6
	v_lshl_or_b32 v79, v63, 16, v79
	v_and_or_b32 v63, 0xffff0000, v63, v75
	v_add_nc_u32_e32 v75, s39, v16
	v_ashrrev_i32_e32 v78, 31, v77
	global_store_dwordx2 v[0:1], v[4:5], off
	global_store_dwordx2 v[2:3], v[67:68], off
	v_add_nc_u32_e32 v0, s40, v16
	v_lshlrev_b64 v[6:7], 1, v[6:7]
	v_lshl_or_b32 v80, v64, 16, v80
	v_and_or_b32 v64, 0xffff0000, v64, v76
	v_ashrrev_i32_e32 v76, 31, v75
	v_lshlrev_b64 v[77:78], 1, v[77:78]
	v_ashrrev_i32_e32 v1, 31, v0
	v_add_co_u32 v6, vcc_lo, s16, v6
	v_lshlrev_b64 v[4:5], 1, v[75:76]
	v_add_nc_u32_e32 v2, s37, v16
	v_lshlrev_b64 v[0:1], 1, v[0:1]
	v_add_co_ci_u32_e64 v7, null, s17, v7, vcc_lo
	v_add_co_u32 v77, vcc_lo, s16, v77
	v_add_co_ci_u32_e64 v78, null, s17, v78, vcc_lo
	v_add_co_u32 v4, vcc_lo, s16, v4
	v_ashrrev_i32_e32 v3, 31, v2
	v_add_co_ci_u32_e64 v5, null, s17, v5, vcc_lo
	v_add_co_u32 v0, vcc_lo, s16, v0
	global_store_dwordx2 v[6:7], v[79:80], off
	global_store_dwordx2 v[77:78], v[63:64], off
	v_lshl_or_b32 v6, v59, 16, v73
	v_lshl_or_b32 v7, v61, 16, v74
	v_and_or_b32 v63, 0xffff0000, v59, v71
	v_and_or_b32 v64, 0xffff0000, v61, v72
	v_add_co_ci_u32_e64 v1, null, s17, v1, vcc_lo
	v_lshlrev_b64 v[2:3], 1, v[2:3]
	v_add_nc_u32_e32 v67, s38, v16
	global_store_dwordx2 v[4:5], v[6:7], off
	global_store_dwordx2 v[0:1], v[63:64], off
	v_add_nc_u32_e32 v0, s35, v16
	v_add_nc_u32_e32 v6, s36, v16
	v_lshl_or_b32 v69, v51, 16, v69
	v_ashrrev_i32_e32 v68, 31, v67
	v_add_co_u32 v2, vcc_lo, s16, v2
	v_ashrrev_i32_e32 v1, 31, v0
	v_lshl_or_b32 v70, v52, 16, v70
	v_add_co_ci_u32_e64 v3, null, s17, v3, vcc_lo
	v_ashrrev_i32_e32 v7, 31, v6
	v_lshlrev_b64 v[4:5], 1, v[67:68]
	v_lshlrev_b64 v[0:1], 1, v[0:1]
	global_store_dwordx2 v[2:3], v[69:70], off
	v_and_or_b32 v2, 0xffff0000, v51, v65
	v_add_nc_u32_e32 v51, s33, v16
	v_lshlrev_b64 v[6:7], 1, v[6:7]
	v_lshl_or_b32 v59, v49, 16, v60
	v_and_or_b32 v49, 0xffff0000, v49, v57
	v_add_nc_u32_e32 v57, s34, v16
	v_add_co_u32 v4, vcc_lo, s16, v4
	v_and_or_b32 v3, 0xffff0000, v52, v66
	v_add_co_ci_u32_e64 v5, null, s17, v5, vcc_lo
	v_ashrrev_i32_e32 v52, 31, v51
	v_add_co_u32 v0, vcc_lo, s16, v0
	v_lshl_or_b32 v60, v50, 16, v62
	v_add_co_ci_u32_e64 v1, null, s17, v1, vcc_lo
	v_and_or_b32 v50, 0xffff0000, v50, v58
	v_add_co_u32 v6, vcc_lo, s16, v6
	v_ashrrev_i32_e32 v58, 31, v57
	v_add_co_ci_u32_e64 v7, null, s17, v7, vcc_lo
	v_lshlrev_b64 v[51:52], 1, v[51:52]
	global_store_dwordx2 v[4:5], v[2:3], off
	global_store_dwordx2 v[0:1], v[59:60], off
	;; [unrolled: 1-line block ×3, first 2 shown]
	v_lshlrev_b64 v[0:1], 1, v[57:58]
	v_add_nc_u32_e32 v4, s30, v16
	v_lshl_or_b32 v55, v45, 16, v55
	v_lshl_or_b32 v56, v46, 16, v56
	v_add_co_u32 v51, vcc_lo, s16, v51
	v_add_co_ci_u32_e64 v52, null, s17, v52, vcc_lo
	v_add_co_u32 v0, vcc_lo, s16, v0
	v_and_or_b32 v2, 0xffff0000, v45, v53
	v_and_or_b32 v3, 0xffff0000, v46, v54
	v_add_co_ci_u32_e64 v1, null, s17, v1, vcc_lo
	v_and_b32_e32 v7, 0xffff, v47
	v_add_nc_u32_e32 v6, s31, v16
	v_ashrrev_i32_e32 v5, 31, v4
	global_store_dwordx2 v[51:52], v[55:56], off
	global_store_dwordx2 v[0:1], v[2:3], off
	v_lshl_or_b32 v0, v43, 16, v7
	v_ashrrev_i32_e32 v7, 31, v6
	v_lshlrev_b64 v[2:3], 1, v[4:5]
	v_and_b32_e32 v45, 0xffff, v48
	v_lshrrev_b32_e32 v46, 16, v48
	s_add_i32 s58, s20, 31
	v_lshlrev_b64 v[4:5], 1, v[6:7]
	v_add_nc_u32_e32 v6, s28, v16
	v_lshl_or_b32 v1, v44, 16, v45
	v_lshrrev_b32_e32 v45, 16, v47
	v_add_co_u32 v2, vcc_lo, s16, v2
	v_add_co_ci_u32_e64 v3, null, s17, v3, vcc_lo
	v_ashrrev_i32_e32 v7, 31, v6
	v_add_co_u32 v4, vcc_lo, s16, v4
	v_and_or_b32 v43, 0xffff0000, v43, v45
	v_and_or_b32 v44, 0xffff0000, v44, v46
	v_add_co_ci_u32_e64 v5, null, s17, v5, vcc_lo
	global_store_dwordx2 v[2:3], v[0:1], off
	v_lshlrev_b64 v[0:1], 1, v[6:7]
	v_and_b32_e32 v45, 0xffff, v42
	v_and_b32_e32 v46, 0xffff, v41
	global_store_dwordx2 v[4:5], v[43:44], off
	v_add_nc_u32_e32 v4, s29, v16
	v_lshrrev_b32_e32 v7, 16, v42
	v_add_co_u32 v0, vcc_lo, s16, v0
	v_lshl_or_b32 v2, v40, 16, v45
	v_lshl_or_b32 v3, v39, 16, v46
	v_add_co_ci_u32_e64 v1, null, s17, v1, vcc_lo
	v_add_nc_u32_e32 v6, s26, v16
	v_ashrrev_i32_e32 v5, 31, v4
	v_lshrrev_b32_e32 v41, 16, v41
	global_store_dwordx2 v[0:1], v[2:3], off
	v_and_or_b32 v0, 0xffff0000, v40, v7
	v_ashrrev_i32_e32 v7, 31, v6
	v_lshlrev_b64 v[2:3], 1, v[4:5]
	v_and_or_b32 v1, 0xffff0000, v39, v41
	v_and_b32_e32 v39, 0xffff, v38
	v_and_b32_e32 v40, 0xffff, v37
	v_lshlrev_b64 v[4:5], 1, v[6:7]
	v_lshrrev_b32_e32 v38, 16, v38
	v_add_co_u32 v2, vcc_lo, s16, v2
	v_lshl_or_b32 v6, v36, 16, v39
	v_add_nc_u32_e32 v39, s27, v16
	v_add_co_ci_u32_e64 v3, null, s17, v3, vcc_lo
	v_lshl_or_b32 v7, v35, 16, v40
	v_add_co_u32 v4, vcc_lo, s16, v4
	v_ashrrev_i32_e32 v40, 31, v39
	v_add_co_ci_u32_e64 v5, null, s17, v5, vcc_lo
	global_store_dwordx2 v[2:3], v[0:1], off
	v_lshrrev_b32_e32 v1, 16, v37
	v_add_nc_u32_e32 v0, s24, v16
	v_lshlrev_b64 v[2:3], 1, v[39:40]
	global_store_dwordx2 v[4:5], v[6:7], off
	v_lshrrev_b32_e32 v39, 16, v33
	v_and_or_b32 v5, 0xffff0000, v35, v1
	v_ashrrev_i32_e32 v1, 31, v0
	v_and_b32_e32 v35, 0xffff, v33
	v_add_co_u32 v6, vcc_lo, s16, v2
	v_add_nc_u32_e32 v2, s25, v16
	v_lshlrev_b64 v[0:1], 1, v[0:1]
	v_add_nc_u32_e32 v33, s19, v16
	v_add_co_ci_u32_e64 v7, null, s17, v3, vcc_lo
	v_ashrrev_i32_e32 v3, 31, v2
	v_and_or_b32 v4, 0xffff0000, v36, v38
	v_and_b32_e32 v36, 0xffff, v34
	v_lshrrev_b32_e32 v40, 16, v34
	v_ashrrev_i32_e32 v34, 31, v33
	v_add_co_u32 v37, vcc_lo, s16, v0
	v_add_co_ci_u32_e64 v38, null, s17, v1, vcc_lo
	v_lshlrev_b64 v[0:1], 1, v[2:3]
	v_lshlrev_b64 v[2:3], 1, v[33:34]
	v_and_b32_e32 v41, 0xffff, v8
	v_and_b32_e32 v42, 0xffff, v10
	v_lshl_or_b32 v36, v31, 16, v36
	v_and_or_b32 v40, 0xffff0000, v31, v40
	v_add_co_u32 v31, vcc_lo, s16, v0
	v_lshl_or_b32 v35, v32, 16, v35
	v_and_or_b32 v39, 0xffff0000, v32, v39
	v_add_co_ci_u32_e64 v32, null, s17, v1, vcc_lo
	v_lshl_or_b32 v33, v9, 16, v41
	v_add_co_u32 v41, vcc_lo, s16, v2
	v_lshl_or_b32 v34, v11, 16, v42
	v_add_co_ci_u32_e64 v42, null, s17, v3, vcc_lo
	v_mov_b32_e32 v3, s58
	v_mov_b32_e32 v2, v8
	;; [unrolled: 1-line block ×5, first 2 shown]
	global_store_dwordx2 v[6:7], v[4:5], off
	global_store_dwordx2 v[37:38], v[35:36], off
	;; [unrolled: 1-line block ×4, first 2 shown]
	s_branch .LBB2_23
.LBB2_46:
	s_endpgm
	.section	.rodata,"a",@progbits
	.p2align	6, 0x0
	.amdhsa_kernel _ZN4vllm4gptq31reconstruct_exllama_3bit_kernelEPKjPKiS2_PK6__halfiiibPS5_
		.amdhsa_group_segment_fixed_size 512
		.amdhsa_private_segment_fixed_size 0
		.amdhsa_kernarg_size 56
		.amdhsa_user_sgpr_count 6
		.amdhsa_user_sgpr_private_segment_buffer 1
		.amdhsa_user_sgpr_dispatch_ptr 0
		.amdhsa_user_sgpr_queue_ptr 0
		.amdhsa_user_sgpr_kernarg_segment_ptr 1
		.amdhsa_user_sgpr_dispatch_id 0
		.amdhsa_user_sgpr_flat_scratch_init 0
		.amdhsa_user_sgpr_private_segment_size 0
		.amdhsa_wavefront_size32 1
		.amdhsa_uses_dynamic_stack 0
		.amdhsa_system_sgpr_private_segment_wavefront_offset 0
		.amdhsa_system_sgpr_workgroup_id_x 1
		.amdhsa_system_sgpr_workgroup_id_y 1
		.amdhsa_system_sgpr_workgroup_id_z 0
		.amdhsa_system_sgpr_workgroup_info 0
		.amdhsa_system_vgpr_workitem_id 0
		.amdhsa_next_free_vgpr 124
		.amdhsa_next_free_sgpr 63
		.amdhsa_reserve_vcc 1
		.amdhsa_reserve_flat_scratch 0
		.amdhsa_float_round_mode_32 0
		.amdhsa_float_round_mode_16_64 0
		.amdhsa_float_denorm_mode_32 3
		.amdhsa_float_denorm_mode_16_64 3
		.amdhsa_dx10_clamp 1
		.amdhsa_ieee_mode 1
		.amdhsa_fp16_overflow 0
		.amdhsa_workgroup_processor_mode 1
		.amdhsa_memory_ordered 1
		.amdhsa_forward_progress 1
		.amdhsa_shared_vgpr_count 0
		.amdhsa_exception_fp_ieee_invalid_op 0
		.amdhsa_exception_fp_denorm_src 0
		.amdhsa_exception_fp_ieee_div_zero 0
		.amdhsa_exception_fp_ieee_overflow 0
		.amdhsa_exception_fp_ieee_underflow 0
		.amdhsa_exception_fp_ieee_inexact 0
		.amdhsa_exception_int_div_zero 0
	.end_amdhsa_kernel
	.text
.Lfunc_end2:
	.size	_ZN4vllm4gptq31reconstruct_exllama_3bit_kernelEPKjPKiS2_PK6__halfiiibPS5_, .Lfunc_end2-_ZN4vllm4gptq31reconstruct_exllama_3bit_kernelEPKjPKiS2_PK6__halfiiibPS5_
                                        ; -- End function
	.set _ZN4vllm4gptq31reconstruct_exllama_3bit_kernelEPKjPKiS2_PK6__halfiiibPS5_.num_vgpr, 124
	.set _ZN4vllm4gptq31reconstruct_exllama_3bit_kernelEPKjPKiS2_PK6__halfiiibPS5_.num_agpr, 0
	.set _ZN4vllm4gptq31reconstruct_exllama_3bit_kernelEPKjPKiS2_PK6__halfiiibPS5_.numbered_sgpr, 63
	.set _ZN4vllm4gptq31reconstruct_exllama_3bit_kernelEPKjPKiS2_PK6__halfiiibPS5_.num_named_barrier, 0
	.set _ZN4vllm4gptq31reconstruct_exllama_3bit_kernelEPKjPKiS2_PK6__halfiiibPS5_.private_seg_size, 0
	.set _ZN4vllm4gptq31reconstruct_exllama_3bit_kernelEPKjPKiS2_PK6__halfiiibPS5_.uses_vcc, 1
	.set _ZN4vllm4gptq31reconstruct_exllama_3bit_kernelEPKjPKiS2_PK6__halfiiibPS5_.uses_flat_scratch, 0
	.set _ZN4vllm4gptq31reconstruct_exllama_3bit_kernelEPKjPKiS2_PK6__halfiiibPS5_.has_dyn_sized_stack, 0
	.set _ZN4vllm4gptq31reconstruct_exllama_3bit_kernelEPKjPKiS2_PK6__halfiiibPS5_.has_recursion, 0
	.set _ZN4vllm4gptq31reconstruct_exllama_3bit_kernelEPKjPKiS2_PK6__halfiiibPS5_.has_indirect_call, 0
	.section	.AMDGPU.csdata,"",@progbits
; Kernel info:
; codeLenInByte = 9232
; TotalNumSgprs: 65
; NumVgprs: 124
; ScratchSize: 0
; MemoryBound: 0
; FloatMode: 240
; IeeeMode: 1
; LDSByteSize: 512 bytes/workgroup (compile time only)
; SGPRBlocks: 0
; VGPRBlocks: 15
; NumSGPRsForWavesPerEU: 65
; NumVGPRsForWavesPerEU: 124
; Occupancy: 8
; WaveLimiterHint : 0
; COMPUTE_PGM_RSRC2:SCRATCH_EN: 0
; COMPUTE_PGM_RSRC2:USER_SGPR: 6
; COMPUTE_PGM_RSRC2:TRAP_HANDLER: 0
; COMPUTE_PGM_RSRC2:TGID_X_EN: 1
; COMPUTE_PGM_RSRC2:TGID_Y_EN: 1
; COMPUTE_PGM_RSRC2:TGID_Z_EN: 0
; COMPUTE_PGM_RSRC2:TIDIG_COMP_CNT: 0
	.text
	.protected	_ZN4vllm4gptq31reconstruct_exllama_2bit_kernelEPKjPKiS2_PK6__halfiiibPS5_ ; -- Begin function _ZN4vllm4gptq31reconstruct_exllama_2bit_kernelEPKjPKiS2_PK6__halfiiibPS5_
	.globl	_ZN4vllm4gptq31reconstruct_exllama_2bit_kernelEPKjPKiS2_PK6__halfiiibPS5_
	.p2align	8
	.type	_ZN4vllm4gptq31reconstruct_exllama_2bit_kernelEPKjPKiS2_PK6__halfiiibPS5_,@function
_ZN4vllm4gptq31reconstruct_exllama_2bit_kernelEPKjPKiS2_PK6__halfiiibPS5_: ; @_ZN4vllm4gptq31reconstruct_exllama_2bit_kernelEPKjPKiS2_PK6__halfiiibPS5_
; %bb.0:
	s_clause 0x1
	s_load_dwordx2 s[8:9], s[4:5], 0x8
	s_load_dwordx4 s[0:3], s[4:5], 0x20
	s_lshl_b32 s14, s7, 7
	s_waitcnt lgkmcnt(0)
	s_cmp_lg_u64 s[8:9], 0
	s_cselect_b32 s15, -1, 0
	s_cmp_eq_u64 s[8:9], 0
	s_cbranch_scc1 .LBB3_4
; %bb.1:
	v_add_nc_u32_e32 v1, s14, v0
	s_mov_b32 s10, exec_lo
	v_cmpx_gt_u32_e64 s0, v1
	s_cbranch_execz .LBB3_3
; %bb.2:
	v_mov_b32_e32 v2, 0
	v_lshlrev_b64 v[1:2], 2, v[1:2]
	v_add_co_u32 v1, vcc_lo, s8, v1
	v_add_co_ci_u32_e64 v2, null, s9, v2, vcc_lo
	global_load_dword v1, v[1:2], off
	v_lshlrev_b32_e32 v2, 2, v0
	s_waitcnt vmcnt(0)
	ds_write_b32 v2, v1
.LBB3_3:
	s_or_b32 exec_lo, exec_lo, s10
.LBB3_4:
	v_lshlrev_b32_e32 v11, 2, v0
	s_lshl_b32 s48, s6, 9
	s_mov_b32 s6, exec_lo
	v_add_nc_u32_e32 v4, s48, v11
	v_cmpx_gt_i32_e64 s1, v4
	s_cbranch_execz .LBB3_18
; %bb.5:
	s_abs_i32 s6, s2
	s_add_i32 s8, s14, 0x80
	v_cvt_f32_u32_e32 v1, s6
	v_cvt_f64_i32_e32 v[5:6], s0
	s_sub_i32 s9, 0, s6
	s_abs_i32 s10, s0
	s_xor_b32 s0, s0, s2
	v_rcp_iflag_f32_e32 v3, v1
	v_cvt_f64_u32_e32 v[1:2], s8
	s_ashr_i32 s0, s0, 31
	s_mov_b32 s16, 0
	s_waitcnt lgkmcnt(0)
	s_barrier
	buffer_gl0_inv
	v_mul_f32_e32 v3, 0x4f7ffffe, v3
	v_cvt_u32_f32_e32 v3, v3
	v_readfirstlane_b32 s8, v3
	v_min_f64 v[1:2], v[1:2], v[5:6]
	s_mul_i32 s9, s9, s8
	s_mul_hi_u32 s9, s8, s9
	s_add_i32 s8, s8, s9
	s_mul_hi_u32 s8, s10, s8
	s_mul_i32 s2, s8, s6
	s_add_i32 s9, s8, 1
	s_sub_i32 s2, s10, s2
	s_sub_i32 s10, s2, s6
	s_cmp_ge_u32 s2, s6
	s_cselect_b32 s8, s9, s8
	s_cselect_b32 s2, s10, s2
	s_add_i32 s9, s8, 1
	s_cmp_ge_u32 s2, s6
	v_cvt_i32_f64_e32 v12, v[1:2]
	s_cselect_b32 s2, s9, s8
	s_xor_b32 s2, s2, s0
	s_sub_i32 s6, s2, s0
	v_cvt_f32_u32_e32 v1, s6
	v_rcp_iflag_f32_e32 v1, v1
	v_mul_f32_e32 v1, 0x4f7ffffe, v1
	v_cmp_ge_i32_e32 vcc_lo, s14, v12
	v_cvt_u32_f32_e32 v1, v1
	v_readfirstlane_b32 s0, v1
	s_cbranch_vccnz .LBB3_18
; %bb.6:
	s_sub_i32 s2, 0, s6
	v_ashrrev_i32_e32 v5, 31, v4
	s_mul_i32 s2, s2, s0
	v_lshlrev_b32_e32 v0, 3, v0
	s_mul_hi_u32 s2, s0, s2
	v_mov_b32_e32 v14, 0x10001
	s_add_i32 s0, s0, s2
	v_lshrrev_b32_e32 v1, 28, v5
	s_mul_hi_u32 s0, s14, s0
	v_and_b32_e32 v15, 24, v0
	s_mul_i32 s2, s0, s6
	s_add_i32 s8, s0, 1
	s_sub_i32 s2, s14, s2
	v_add_nc_u32_e32 v1, v4, v1
	s_sub_i32 s9, s2, s6
	s_cmp_ge_u32 s2, s6
	s_mov_b32 s51, 0x300030
	s_cselect_b32 s0, s8, s0
	s_cselect_b32 s2, s9, s2
	s_add_i32 s8, s0, 1
	s_cmp_ge_u32 s2, s6
	v_ashrrev_i32_e32 v13, 4, v1
	s_cselect_b32 s17, s8, s0
	s_load_dwordx4 s[8:11], s[4:5], 0x10
	s_mul_i32 s0, s17, s1
	s_mov_b32 s52, 0xc000c0
	s_ashr_i32 s2, s0, 31
	v_add_nc_u32_e32 v1, s0, v4
	s_lshr_b32 s2, s2, 28
	s_add_i32 s0, s0, s2
	s_mov_b32 s2, s1
	s_ashr_i32 s0, s0, 4
	v_ashrrev_i32_e32 v2, 31, v1
	v_add_nc_u32_e32 v6, s0, v13
	s_bitcmp1_b32 s3, 0
	s_mul_i32 s0, s7, s1
	s_cselect_b32 s3, -1, 0
	v_lshlrev_b64 v[1:2], 1, v[1:2]
	v_ashrrev_i32_e32 v7, 31, v6
	s_lshr_b32 s18, s14, 4
	s_xor_b32 s3, s3, -1
	s_mul_i32 s18, s1, s18
	v_cndmask_b32_e64 v16, 0, 1, s3
	v_lshlrev_b64 v[6:7], 2, v[6:7]
	s_waitcnt lgkmcnt(0)
	v_add_co_u32 v1, vcc_lo, s10, v1
	v_add_co_ci_u32_e64 v2, null, s11, v2, vcc_lo
	s_ashr_i32 s19, s18, 31
	v_add_co_u32 v6, vcc_lo, s8, v6
	v_add_co_ci_u32_e64 v7, null, s9, v7, vcc_lo
	s_lshl_b64 s[18:19], s[18:19], 2
	s_mov_b32 s7, 0xe400e400
	global_load_dwordx2 v[1:2], v[1:2], off
	global_load_dword v3, v[6:7], off
	s_clause 0x1
	s_load_dwordx2 s[12:13], s[4:5], 0x0
	s_load_dwordx2 s[4:5], s[4:5], 0x30
	v_lshlrev_b64 v[5:6], 2, v[4:5]
	s_waitcnt lgkmcnt(0)
	s_add_u32 s18, s12, s18
	s_addc_u32 s19, s13, s19
	v_add_co_u32 v5, vcc_lo, s18, v5
	s_add_i32 s20, s14, 30
	s_add_i32 s21, s14, 28
	;; [unrolled: 1-line block ×28, first 2 shown]
	s_lshl_b32 s0, s0, 7
	s_add_i32 s50, s14, 1
	v_add_co_ci_u32_e64 v6, null, s19, v6, vcc_lo
	s_ashr_i32 s3, s1, 31
	s_mul_i32 s19, s1, s20
	s_mul_i32 s20, s1, s21
	;; [unrolled: 1-line block ×28, first 2 shown]
	s_add_i32 s18, s0, s48
	s_mul_i32 s0, s1, s50
	s_add_i32 s12, s6, s14
	s_lshl_b32 s13, s1, 5
	s_lshl_b64 s[2:3], s[2:3], 2
	s_add_i32 s19, s19, s48
	s_add_i32 s20, s20, s48
	;; [unrolled: 1-line block ×29, first 2 shown]
	s_mov_b32 s49, 0x30003
	s_mov_b32 s50, 0xc000c
	s_waitcnt vmcnt(1)
	v_mul_u32_u24_sdwa v20, v2, v14 dst_sel:DWORD dst_unused:UNUSED_PAD src0_sel:WORD_1 src1_sel:DWORD
	s_waitcnt vmcnt(0)
	v_lshrrev_b32_e32 v0, v0, v3
	v_mul_u32_u24_sdwa v17, v2, v14 dst_sel:DWORD dst_unused:UNUSED_PAD src0_sel:WORD_0 src1_sel:DWORD
	v_mul_u32_u24_sdwa v18, v1, v14 dst_sel:DWORD dst_unused:UNUSED_PAD src0_sel:WORD_1 src1_sel:DWORD
	v_mul_u32_u24_sdwa v19, v1, v14 dst_sel:DWORD dst_unused:UNUSED_PAD src0_sel:WORD_0 src1_sel:DWORD
	v_bfe_u32 v21, v3, v15, 2
	v_bfe_u32 v22, v0, 2, 2
	;; [unrolled: 1-line block ×4, first 2 shown]
	s_branch .LBB3_8
.LBB3_7:                                ;   in Loop: Header=BB3_8 Depth=1
	v_mad_u64_u32 v[7:8], null, v3, s1, v[4:5]
	v_lshrrev_b32_e32 v9, 16, v2
	v_lshrrev_b32_e32 v10, 16, v65
	s_add_i32 s14, s14, 32
	v_add_co_u32 v5, s0, v5, s2
	v_and_or_b32 v0, 0xffff0000, v0, v9
	v_ashrrev_i32_e32 v8, 31, v7
	v_and_or_b32 v1, 0xffff0000, v1, v10
	v_add_co_ci_u32_e64 v6, null, s3, v6, s0
	s_addk_i32 s16, 0x80
	v_lshlrev_b64 v[2:3], 1, v[7:8]
	s_add_i32 s19, s19, s13
	s_add_i32 s20, s20, s13
	;; [unrolled: 1-line block ×5, first 2 shown]
	v_add_co_u32 v2, vcc_lo, s4, v2
	v_add_co_ci_u32_e64 v3, null, s5, v3, vcc_lo
	v_cmp_lt_i32_e32 vcc_lo, s14, v12
	s_add_i32 s24, s24, s13
	s_add_i32 s25, s25, s13
	;; [unrolled: 1-line block ×25, first 2 shown]
	global_store_dwordx2 v[2:3], v[0:1], off
	s_cbranch_vccz .LBB3_18
.LBB3_8:                                ; =>This Inner Loop Header: Depth=1
	s_cmp_lg_u32 s14, s12
	s_cbranch_scc1 .LBB3_10
; %bb.9:                                ;   in Loop: Header=BB3_8 Depth=1
	s_add_i32 s17, s17, 1
	s_add_i32 s12, s12, s6
	s_mul_i32 s0, s17, s1
	s_ashr_i32 s53, s0, 31
	v_add_nc_u32_e32 v2, s0, v4
	s_lshr_b32 s53, s53, 28
	s_add_i32 s53, s0, s53
	v_ashrrev_i32_e32 v3, 31, v2
	s_ashr_i32 s53, s53, 4
	v_add_nc_u32_e32 v0, s53, v13
	v_lshlrev_b64 v[2:3], 1, v[2:3]
	v_ashrrev_i32_e32 v1, 31, v0
	v_lshlrev_b64 v[0:1], 2, v[0:1]
	v_add_co_u32 v0, vcc_lo, s8, v0
	v_add_co_ci_u32_e64 v1, null, s9, v1, vcc_lo
	v_add_co_u32 v2, vcc_lo, s10, v2
	v_add_co_ci_u32_e64 v3, null, s11, v3, vcc_lo
	global_load_dword v7, v[0:1], off
	global_load_dwordx2 v[0:1], v[2:3], off
	s_waitcnt vmcnt(1)
	v_lshrrev_b32_e32 v2, v15, v7
	s_waitcnt vmcnt(0)
	v_mul_u32_u24_sdwa v19, v0, v14 dst_sel:DWORD dst_unused:UNUSED_PAD src0_sel:WORD_0 src1_sel:DWORD
	v_mul_u32_u24_sdwa v18, v0, v14 dst_sel:DWORD dst_unused:UNUSED_PAD src0_sel:WORD_1 src1_sel:DWORD
	v_mul_u32_u24_sdwa v17, v1, v14 dst_sel:DWORD dst_unused:UNUSED_PAD src0_sel:WORD_0 src1_sel:DWORD
	v_bfe_u32 v21, v7, v15, 2
	v_bfe_u32 v22, v2, 2, 2
	;; [unrolled: 1-line block ×4, first 2 shown]
	v_mul_u32_u24_sdwa v20, v1, v14 dst_sel:DWORD dst_unused:UNUSED_PAD src0_sel:WORD_1 src1_sel:DWORD
.LBB3_10:                               ;   in Loop: Header=BB3_8 Depth=1
	global_load_dwordx4 v[0:3], v[5:6], off
	v_add_nc_u32_e32 v7, v21, v16
	v_add_nc_u32_e32 v8, v22, v16
	;; [unrolled: 1-line block ×4, first 2 shown]
	s_andn2_b32 vcc_lo, exec_lo, s15
	v_cvt_f32_i32_e32 v25, v7
	v_and_b32_e32 v7, 0x1bff, v7
	v_cvt_f32_i32_e32 v26, v8
	v_and_b32_e32 v8, 0x1bff, v8
	v_cvt_f32_i32_e32 v29, v9
	v_and_b32_e32 v9, 0x1bff, v9
	v_cvt_f32_i32_e32 v30, v10
	v_and_b32_e32 v10, 0x1bff, v10
	v_cvt_f16_f32_e32 v31, v25
	v_mad_u32_u24 v28, 0x10001, v7, s7
	v_cvt_f16_f32_e32 v7, v26
	v_mad_u32_u24 v27, 0x10001, v8, s7
	;; [unrolled: 2-line block ×4, first 2 shown]
	v_sub_f16_e32 v10, 0xdc00, v31
	v_sub_f16_e32 v29, 0xd400, v31
	;; [unrolled: 1-line block ×12, first 2 shown]
	v_mul_u32_u24_sdwa v38, v10, v14 dst_sel:DWORD dst_unused:UNUSED_PAD src0_sel:WORD_0 src1_sel:DWORD
	v_mul_u32_u24_sdwa v39, v29, v14 dst_sel:DWORD dst_unused:UNUSED_PAD src0_sel:WORD_0 src1_sel:DWORD
	;; [unrolled: 1-line block ×12, first 2 shown]
	s_waitcnt vmcnt(0)
	v_and_or_b32 v7, v0, s49, 0x64006400
	v_and_or_b32 v8, v0, s50, 0x64006400
	v_and_or_b32 v9, v0, s51, 0x64006400
	v_and_or_b32 v10, v0, s52, 0x64006400
	v_lshrrev_b32_e32 v0, 8, v0
	v_and_or_b32 v41, v1, s49, 0x64006400
	v_and_or_b32 v42, v1, s50, 0x64006400
	v_and_or_b32 v43, v1, s51, 0x64006400
	v_and_or_b32 v44, v1, s52, 0x64006400
	v_lshrrev_b32_e32 v1, 8, v1
	v_and_or_b32 v45, v2, s49, 0x64006400
	v_and_or_b32 v46, v2, s50, 0x64006400
	v_and_or_b32 v47, v2, s51, 0x64006400
	v_and_or_b32 v48, v2, s52, 0x64006400
	v_lshrrev_b32_e32 v2, 8, v2
	v_and_or_b32 v49, v3, s49, 0x64006400
	v_and_or_b32 v50, v3, s50, 0x64006400
	v_and_or_b32 v51, v3, s51, 0x64006400
	v_and_or_b32 v52, v3, s52, 0x64006400
	v_lshrrev_b32_e32 v3, 8, v3
	v_and_or_b32 v53, v0, s49, 0x64006400
	v_and_or_b32 v54, v0, s50, 0x64006400
	v_and_or_b32 v55, v0, s51, 0x64006400
	v_and_or_b32 v0, v0, s52, 0x64006400
	v_pk_add_f16 v7, v28, v7
	v_and_or_b32 v56, v1, s49, 0x64006400
	v_and_or_b32 v57, v1, s50, 0x64006400
	;; [unrolled: 1-line block ×4, first 2 shown]
	v_pk_add_f16 v45, v26, v45
	v_pk_add_f16 v41, v27, v41
	v_and_or_b32 v59, v2, s49, 0x64006400
	v_and_or_b32 v60, v2, s50, 0x64006400
	v_and_or_b32 v61, v2, s51, 0x64006400
	v_and_or_b32 v2, v2, s52, 0x64006400
	v_and_or_b32 v62, v3, s49, 0x64006400
	v_pk_fma_f16 v8, 0x3400, v8, v38 op_sel_hi:[0,1,1]
	v_pk_fma_f16 v9, 0x2c00, v9, v39 op_sel_hi:[0,1,1]
	;; [unrolled: 1-line block ×3, first 2 shown]
	v_pk_add_f16 v49, v25, v49
	v_pk_fma_f16 v43, 0x2c00, v43, v36 op_sel_hi:[0,1,1]
	v_pk_fma_f16 v44, 0x2400, v44, v37 op_sel_hi:[0,1,1]
	;; [unrolled: 1-line block ×5, first 2 shown]
	v_and_or_b32 v63, v3, s50, 0x64006400
	v_and_or_b32 v64, v3, s51, 0x64006400
	;; [unrolled: 1-line block ×3, first 2 shown]
	v_pk_fma_f16 v50, 0x3400, v50, v29 op_sel_hi:[0,1,1]
	v_pk_fma_f16 v51, 0x2c00, v51, v30 op_sel_hi:[0,1,1]
	;; [unrolled: 1-line block ×3, first 2 shown]
	v_pk_mul_f16 v7, v19, v7
	v_pk_mul_f16 v45, v17, v45
	;; [unrolled: 1-line block ×3, first 2 shown]
	v_pk_add_f16 v41, v28, v53
	v_pk_fma_f16 v67, 0x3400, v54, v38 op_sel_hi:[0,1,1]
	v_pk_fma_f16 v55, 0x2c00, v55, v39 op_sel_hi:[0,1,1]
	;; [unrolled: 1-line block ×3, first 2 shown]
	v_pk_add_f16 v0, v27, v56
	v_pk_fma_f16 v82, 0x2400, v1, v37 op_sel_hi:[0,1,1]
	v_pk_add_f16 v1, v26, v59
	v_pk_fma_f16 v60, 0x3400, v60, v32 op_sel_hi:[0,1,1]
	v_pk_fma_f16 v61, 0x2c00, v61, v33 op_sel_hi:[0,1,1]
	;; [unrolled: 1-line block ×3, first 2 shown]
	v_pk_add_f16 v2, v25, v62
	v_pk_fma_f16 v42, 0x3400, v42, v35 op_sel_hi:[0,1,1]
	v_pk_mul_f16 v49, v20, v49
	v_pk_fma_f16 v56, 0x3400, v57, v35 op_sel_hi:[0,1,1]
	v_pk_fma_f16 v58, 0x2c00, v58, v36 op_sel_hi:[0,1,1]
	;; [unrolled: 1-line block ×5, first 2 shown]
	v_pk_mul_f16 v3, v19, v8
	v_pk_mul_f16 v8, v17, v46
	;; [unrolled: 1-line block ×11, first 2 shown]
	v_and_b32_e32 v46, 0xffff, v7
	v_and_b32_e32 v50, 0xffff, v45
	v_lshrrev_b32_e32 v51, 16, v7
	v_lshrrev_b32_e32 v52, 16, v45
	v_pk_mul_f16 v85, v19, v41
	v_pk_mul_f16 v53, v18, v0
	;; [unrolled: 1-line block ×13, first 2 shown]
	v_and_b32_e32 v79, 0xffff, v3
	v_lshrrev_b32_e32 v77, 16, v3
	v_and_b32_e32 v80, 0xffff, v8
	v_lshrrev_b32_e32 v78, 16, v8
	v_and_b32_e32 v75, 0xffff, v9
	v_lshrrev_b32_e32 v71, 16, v9
	v_and_b32_e32 v76, 0xffff, v43
	v_lshrrev_b32_e32 v72, 16, v43
	v_and_b32_e32 v69, 0xffff, v10
	v_lshrrev_b32_e32 v67, 16, v10
	v_and_b32_e32 v70, 0xffff, v44
	v_lshrrev_b32_e32 v68, 16, v44
	v_pk_mul_f16 v43, v19, v81
	v_pk_mul_f16 v44, v18, v82
	;; [unrolled: 1-line block ×3, first 2 shown]
	v_lshl_or_b32 v7, v66, 16, v46
	v_lshl_or_b32 v8, v49, 16, v50
	v_and_or_b32 v9, 0xffff0000, v66, v51
	v_and_or_b32 v10, 0xffff0000, v49, v52
	v_and_b32_e32 v64, 0xffff, v85
	v_lshrrev_b32_e32 v61, 16, v85
	v_and_b32_e32 v66, 0xffff, v0
	v_lshrrev_b32_e32 v62, 16, v0
	;; [unrolled: 2-line block ×6, first 2 shown]
	v_pk_mul_f16 v46, v20, v84
	s_cbranch_vccnz .LBB3_15
; %bb.11:                               ;   in Loop: Header=BB3_8 Depth=1
	v_mov_b32_e32 v0, s16
	v_lshl_or_b32 v97, v73, 16, v79
	v_lshl_or_b32 v98, v74, 16, v80
	v_and_or_b32 v99, 0xffff0000, v73, v77
	v_and_or_b32 v100, 0xffff0000, v74, v78
	ds_read_b128 v[85:88], v0
	ds_read_b128 v[89:92], v0 offset:16
	ds_read_b128 v[93:96], v0 offset:32
	;; [unrolled: 1-line block ×3, first 2 shown]
	v_lshl_or_b32 v101, v63, 16, v75
	s_waitcnt lgkmcnt(3)
	v_mad_u64_u32 v[102:103], null, v85, s1, v[4:5]
	v_mad_u64_u32 v[85:86], null, v86, s1, v[4:5]
	;; [unrolled: 1-line block ×4, first 2 shown]
	v_ashrrev_i32_e32 v103, 31, v102
	s_waitcnt lgkmcnt(2)
	v_mad_u64_u32 v[106:107], null, v89, s1, v[4:5]
	v_ashrrev_i32_e32 v86, 31, v85
	v_ashrrev_i32_e32 v105, 31, v104
	v_lshlrev_b64 v[102:103], 1, v[102:103]
	v_ashrrev_i32_e32 v88, 31, v87
	v_mad_u64_u32 v[89:90], null, v90, s1, v[4:5]
	v_lshlrev_b64 v[85:86], 1, v[85:86]
	v_lshlrev_b64 v[104:105], 1, v[104:105]
	;; [unrolled: 1-line block ×3, first 2 shown]
	v_add_co_u32 v102, vcc_lo, s4, v102
	v_add_co_ci_u32_e64 v103, null, s5, v103, vcc_lo
	v_add_co_u32 v85, vcc_lo, s4, v85
	v_add_co_ci_u32_e64 v86, null, s5, v86, vcc_lo
	;; [unrolled: 2-line block ×3, first 2 shown]
	v_add_co_u32 v87, vcc_lo, s4, v87
	v_ashrrev_i32_e32 v107, 31, v106
	v_add_co_ci_u32_e64 v88, null, s5, v88, vcc_lo
	v_ashrrev_i32_e32 v90, 31, v89
	global_store_dwordx2 v[102:103], v[7:8], off
	global_store_dwordx2 v[85:86], v[9:10], off
	;; [unrolled: 1-line block ×4, first 2 shown]
	v_mad_u64_u32 v[85:86], null, v91, s1, v[4:5]
	v_lshlrev_b64 v[106:107], 1, v[106:107]
	v_mad_u64_u32 v[91:92], null, v92, s1, v[4:5]
	v_lshlrev_b64 v[89:90], 1, v[89:90]
	v_lshl_or_b32 v102, v65, 16, v76
	v_and_or_b32 v97, 0xffff0000, v63, v71
	v_add_co_u32 v87, vcc_lo, s4, v106
	v_ashrrev_i32_e32 v86, 31, v85
	v_add_co_ci_u32_e64 v88, null, s5, v107, vcc_lo
	v_add_co_u32 v89, vcc_lo, s4, v89
	v_ashrrev_i32_e32 v92, 31, v91
	v_and_or_b32 v98, 0xffff0000, v65, v72
	v_add_co_ci_u32_e64 v90, null, s5, v90, vcc_lo
	s_waitcnt lgkmcnt(1)
	v_mad_u64_u32 v[105:106], null, v93, s1, v[4:5]
	v_lshlrev_b64 v[85:86], 1, v[85:86]
	v_mad_u64_u32 v[93:94], null, v94, s1, v[4:5]
	v_lshlrev_b64 v[91:92], 1, v[91:92]
	global_store_dwordx2 v[87:88], v[101:102], off
	global_store_dwordx2 v[89:90], v[97:98], off
	v_mad_u64_u32 v[89:90], null, v95, s1, v[4:5]
	v_add_co_u32 v85, vcc_lo, s4, v85
	v_ashrrev_i32_e32 v106, 31, v105
	v_add_co_ci_u32_e64 v86, null, s5, v86, vcc_lo
	v_add_co_u32 v91, vcc_lo, s4, v91
	v_lshl_or_b32 v99, v57, 16, v69
	v_lshl_or_b32 v100, v59, 16, v70
	v_ashrrev_i32_e32 v94, 31, v93
	v_and_or_b32 v103, 0xffff0000, v57, v67
	v_and_or_b32 v104, 0xffff0000, v59, v68
	v_add_co_ci_u32_e64 v92, null, s5, v92, vcc_lo
	v_ashrrev_i32_e32 v90, 31, v89
	v_lshlrev_b64 v[87:88], 1, v[105:106]
	global_store_dwordx2 v[85:86], v[99:100], off
	global_store_dwordx2 v[91:92], v[103:104], off
	v_lshlrev_b64 v[91:92], 1, v[93:94]
	v_mad_u64_u32 v[97:98], null, v96, s1, v[4:5]
	v_lshlrev_b64 v[89:90], 1, v[89:90]
	v_add_co_u32 v87, vcc_lo, s4, v87
	v_add_co_ci_u32_e64 v88, null, s5, v88, vcc_lo
	v_add_co_u32 v91, vcc_lo, s4, v91
	v_lshl_or_b32 v85, v53, 16, v64
	v_lshl_or_b32 v86, v54, 16, v66
	v_add_co_ci_u32_e64 v92, null, s5, v92, vcc_lo
	v_add_co_u32 v89, vcc_lo, s4, v89
	v_and_or_b32 v93, 0xffff0000, v53, v61
	v_and_or_b32 v94, 0xffff0000, v54, v62
	s_waitcnt lgkmcnt(0)
	v_mad_u64_u32 v[99:100], null, v0, s1, v[4:5]
	v_lshl_or_b32 v95, v47, 16, v58
	v_lshl_or_b32 v96, v48, 16, v60
	v_add_co_ci_u32_e64 v90, null, s5, v90, vcc_lo
	v_mad_u64_u32 v[0:1], null, v1, s1, v[4:5]
	global_store_dwordx2 v[87:88], v[85:86], off
	global_store_dwordx2 v[91:92], v[93:94], off
	;; [unrolled: 1-line block ×3, first 2 shown]
	v_mad_u64_u32 v[93:94], null, v2, s1, v[4:5]
	v_ashrrev_i32_e32 v98, 31, v97
	v_ashrrev_i32_e32 v100, 31, v99
	v_pk_mul_f16 v2, v19, v81
	v_ashrrev_i32_e32 v1, 31, v0
	v_pk_mul_f16 v81, v17, v83
	v_lshlrev_b64 v[87:88], 1, v[97:98]
	v_ashrrev_i32_e32 v94, 31, v93
	v_lshlrev_b64 v[91:92], 1, v[99:100]
	v_lshlrev_b64 v[97:98], 1, v[0:1]
	v_pk_mul_f16 v0, v18, v82
	v_pk_mul_f16 v1, v20, v84
	v_add_co_u32 v87, vcc_lo, s4, v87
	v_lshlrev_b64 v[82:83], 1, v[93:94]
	v_add_co_ci_u32_e64 v88, null, s5, v88, vcc_lo
	v_add_co_u32 v91, vcc_lo, s4, v91
	v_and_b32_e32 v84, 0xffff, v2
	v_and_b32_e32 v99, 0xffff, v81
	v_add_co_ci_u32_e64 v92, null, s5, v92, vcc_lo
	v_add_co_u32 v93, vcc_lo, s4, v97
	v_add_co_ci_u32_e64 v94, null, s5, v98, vcc_lo
	v_add_co_u32 v82, vcc_lo, s4, v82
	v_and_or_b32 v85, 0xffff0000, v47, v55
	v_and_or_b32 v86, 0xffff0000, v48, v56
	v_lshl_or_b32 v97, v0, 16, v84
	v_lshl_or_b32 v98, v1, 16, v99
	v_add_co_ci_u32_e64 v83, null, s5, v83, vcc_lo
	v_lshl_or_b32 v89, v42, 16, v51
	v_lshl_or_b32 v90, v41, 16, v52
	v_and_or_b32 v95, 0xffff0000, v42, v50
	v_and_or_b32 v96, 0xffff0000, v41, v49
	global_store_dwordx2 v[87:88], v[85:86], off
	global_store_dwordx2 v[91:92], v[89:90], off
	;; [unrolled: 1-line block ×4, first 2 shown]
	s_cbranch_execnz .LBB3_13
.LBB3_12:                               ;   in Loop: Header=BB3_8 Depth=1
	v_add_nc_u32_e32 v0, s18, v11
	v_add_nc_u32_e32 v2, s48, v11
	;; [unrolled: 1-line block ×5, first 2 shown]
	v_ashrrev_i32_e32 v1, 31, v0
	v_ashrrev_i32_e32 v3, 31, v2
	;; [unrolled: 1-line block ×5, first 2 shown]
	v_lshlrev_b64 v[0:1], 1, v[0:1]
	v_lshlrev_b64 v[2:3], 1, v[2:3]
	;; [unrolled: 1-line block ×3, first 2 shown]
	v_lshl_or_b32 v75, v63, 16, v75
	v_lshl_or_b32 v76, v65, 16, v76
	;; [unrolled: 1-line block ×3, first 2 shown]
	v_add_co_u32 v0, vcc_lo, s4, v0
	v_add_co_ci_u32_e64 v1, null, s5, v1, vcc_lo
	v_add_co_u32 v2, vcc_lo, s4, v2
	v_add_co_ci_u32_e64 v3, null, s5, v3, vcc_lo
	global_store_dwordx2 v[0:1], v[7:8], off
	global_store_dwordx2 v[2:3], v[9:10], off
	v_lshlrev_b64 v[2:3], 1, v[83:84]
	v_add_co_u32 v7, vcc_lo, s4, v81
	v_lshl_or_b32 v0, v73, 16, v79
	v_lshl_or_b32 v1, v74, 16, v80
	v_and_or_b32 v9, 0xffff0000, v73, v77
	v_and_or_b32 v10, 0xffff0000, v74, v78
	v_lshlrev_b64 v[73:74], 1, v[85:86]
	v_add_co_ci_u32_e64 v8, null, s5, v82, vcc_lo
	v_add_nc_u32_e32 v77, s45, v11
	v_add_co_u32 v2, vcc_lo, s4, v2
	v_add_nc_u32_e32 v79, s42, v11
	v_add_co_ci_u32_e64 v3, null, s5, v3, vcc_lo
	v_add_co_u32 v73, vcc_lo, s4, v73
	global_store_dwordx2 v[7:8], v[0:1], off
	v_add_nc_u32_e32 v0, s43, v11
	v_ashrrev_i32_e32 v78, 31, v77
	v_add_co_ci_u32_e64 v74, null, s5, v74, vcc_lo
	v_ashrrev_i32_e32 v80, 31, v79
	v_ashrrev_i32_e32 v1, 31, v0
	global_store_dwordx2 v[2:3], v[9:10], off
	global_store_dwordx2 v[73:74], v[75:76], off
	v_lshlrev_b64 v[2:3], 1, v[77:78]
	v_and_or_b32 v7, 0xffff0000, v63, v71
	v_lshlrev_b64 v[9:10], 1, v[79:80]
	v_lshlrev_b64 v[0:1], 1, v[0:1]
	v_and_or_b32 v8, 0xffff0000, v65, v72
	v_lshl_or_b32 v70, v59, 16, v70
	v_add_co_u32 v2, vcc_lo, s4, v2
	v_add_co_ci_u32_e64 v3, null, s5, v3, vcc_lo
	v_add_co_u32 v9, vcc_lo, s4, v9
	v_add_co_ci_u32_e64 v10, null, s5, v10, vcc_lo
	v_add_co_u32 v0, vcc_lo, s4, v0
	v_and_or_b32 v67, 0xffff0000, v57, v67
	v_and_or_b32 v68, 0xffff0000, v59, v68
	v_add_nc_u32_e32 v71, s40, v11
	v_add_co_ci_u32_e64 v1, null, s5, v1, vcc_lo
	v_add_nc_u32_e32 v73, s41, v11
	global_store_dwordx2 v[2:3], v[7:8], off
	global_store_dwordx2 v[9:10], v[69:70], off
	;; [unrolled: 1-line block ×3, first 2 shown]
	v_add_nc_u32_e32 v0, s38, v11
	v_ashrrev_i32_e32 v72, 31, v71
	v_ashrrev_i32_e32 v74, 31, v73
	v_add_nc_u32_e32 v59, s39, v11
	v_lshl_or_b32 v7, v53, 16, v64
	v_ashrrev_i32_e32 v1, 31, v0
	v_lshlrev_b64 v[2:3], 1, v[71:72]
	v_lshlrev_b64 v[9:10], 1, v[73:74]
	v_lshl_or_b32 v8, v54, 16, v66
	v_and_or_b32 v53, 0xffff0000, v53, v61
	v_lshlrev_b64 v[0:1], 1, v[0:1]
	v_and_or_b32 v54, 0xffff0000, v54, v62
	v_add_co_u32 v2, vcc_lo, s4, v2
	v_add_co_ci_u32_e64 v3, null, s5, v3, vcc_lo
	v_add_co_u32 v9, vcc_lo, s4, v9
	v_add_co_ci_u32_e64 v10, null, s5, v10, vcc_lo
	v_add_co_u32 v0, vcc_lo, s4, v0
	v_lshl_or_b32 v57, v47, 16, v58
	v_lshl_or_b32 v58, v48, 16, v60
	v_add_co_ci_u32_e64 v1, null, s5, v1, vcc_lo
	v_ashrrev_i32_e32 v60, 31, v59
	global_store_dwordx2 v[2:3], v[7:8], off
	global_store_dwordx2 v[9:10], v[53:54], off
	v_add_nc_u32_e32 v2, s36, v11
	global_store_dwordx2 v[0:1], v[57:58], off
	v_and_or_b32 v7, 0xffff0000, v47, v55
	v_lshlrev_b64 v[0:1], 1, v[59:60]
	v_add_nc_u32_e32 v9, s37, v11
	v_ashrrev_i32_e32 v3, 31, v2
	v_and_or_b32 v8, 0xffff0000, v48, v56
	v_lshl_or_b32 v51, v42, 16, v51
	v_lshl_or_b32 v52, v41, 16, v52
	v_add_co_u32 v47, vcc_lo, s4, v0
	v_add_co_ci_u32_e64 v48, null, s5, v1, vcc_lo
	v_lshlrev_b64 v[0:1], 1, v[2:3]
	v_add_nc_u32_e32 v2, s35, v11
	v_ashrrev_i32_e32 v10, 31, v9
	v_and_or_b32 v55, 0xffff0000, v42, v50
	v_and_or_b32 v56, 0xffff0000, v41, v49
	v_and_b32_e32 v41, 0xffff, v43
	v_ashrrev_i32_e32 v3, 31, v2
	v_add_co_u32 v53, vcc_lo, s4, v0
	v_add_co_ci_u32_e64 v54, null, s5, v1, vcc_lo
	v_lshlrev_b64 v[0:1], 1, v[9:10]
	v_lshlrev_b64 v[2:3], 1, v[2:3]
	v_and_b32_e32 v42, 0xffff, v45
	s_add_i32 s0, s14, 15
	v_mov_b32_e32 v81, v45
	v_lshl_or_b32 v41, v44, 16, v41
	v_add_co_u32 v9, vcc_lo, s4, v0
	v_add_co_ci_u32_e64 v10, null, s5, v1, vcc_lo
	v_add_co_u32 v49, vcc_lo, s4, v2
	v_add_co_ci_u32_e64 v50, null, s5, v3, vcc_lo
	v_mov_b32_e32 v3, s0
	v_mov_b32_e32 v2, v43
	v_mov_b32_e32 v0, v44
	v_mov_b32_e32 v1, v46
	v_lshl_or_b32 v42, v46, 16, v42
	global_store_dwordx2 v[47:48], v[7:8], off
	global_store_dwordx2 v[53:54], v[51:52], off
	;; [unrolled: 1-line block ×4, first 2 shown]
.LBB3_13:                               ;   in Loop: Header=BB3_8 Depth=1
	v_add_co_u32 v5, vcc_lo, v5, s2
	v_add_co_ci_u32_e64 v6, null, s3, v6, vcc_lo
	v_lshrrev_b32_e32 v43, 16, v2
	v_mad_u64_u32 v[41:42], null, v3, s1, v[4:5]
	global_load_dwordx4 v[7:10], v[5:6], off
	v_lshrrev_b32_e32 v44, 16, v81
	v_and_or_b32 v0, 0xffff0000, v0, v43
	v_and_or_b32 v1, 0xffff0000, v1, v44
	v_ashrrev_i32_e32 v42, 31, v41
	v_lshlrev_b64 v[2:3], 1, v[41:42]
	v_add_co_u32 v2, vcc_lo, s4, v2
	v_add_co_ci_u32_e64 v3, null, s5, v3, vcc_lo
	s_andn2_b32 vcc_lo, exec_lo, s15
	global_store_dwordx2 v[2:3], v[0:1], off
	s_waitcnt vmcnt(0)
	v_and_or_b32 v41, v7, s49, 0x64006400
	v_and_or_b32 v42, v7, s50, 0x64006400
	v_and_or_b32 v43, v7, s51, 0x64006400
	v_and_or_b32 v44, v7, s52, 0x64006400
	v_lshrrev_b32_e32 v7, 8, v7
	v_and_or_b32 v45, v8, s49, 0x64006400
	v_and_or_b32 v46, v8, s50, 0x64006400
	v_and_or_b32 v47, v8, s51, 0x64006400
	v_and_or_b32 v48, v8, s52, 0x64006400
	v_lshrrev_b32_e32 v8, 8, v8
	;; [unrolled: 5-line block ×4, first 2 shown]
	v_and_or_b32 v57, v7, s49, 0x64006400
	v_and_or_b32 v58, v7, s50, 0x64006400
	v_and_or_b32 v59, v7, s51, 0x64006400
	v_pk_add_f16 v41, v28, v41
	v_and_or_b32 v60, v8, s49, 0x64006400
	v_and_or_b32 v61, v8, s50, 0x64006400
	;; [unrolled: 1-line block ×8, first 2 shown]
	v_pk_add_f16 v49, v26, v49
	v_and_or_b32 v68, v10, s49, 0x64006400
	v_and_or_b32 v69, v10, s50, 0x64006400
	;; [unrolled: 1-line block ×5, first 2 shown]
	v_pk_fma_f16 v42, 0x3400, v42, v38 op_sel_hi:[0,1,1]
	v_pk_fma_f16 v43, 0x2c00, v43, v39 op_sel_hi:[0,1,1]
	;; [unrolled: 1-line block ×3, first 2 shown]
	v_pk_add_f16 v45, v27, v45
	v_pk_fma_f16 v46, 0x3400, v46, v35 op_sel_hi:[0,1,1]
	v_pk_fma_f16 v47, 0x2c00, v47, v36 op_sel_hi:[0,1,1]
	;; [unrolled: 1-line block ×6, first 2 shown]
	v_pk_add_f16 v53, v25, v53
	v_pk_fma_f16 v56, 0x2400, v56, v31 op_sel_hi:[0,1,1]
	v_pk_add_f16 v28, v28, v57
	v_pk_fma_f16 v71, 0x3400, v58, v38 op_sel_hi:[0,1,1]
	v_pk_fma_f16 v39, 0x2c00, v59, v39 op_sel_hi:[0,1,1]
	;; [unrolled: 1-line block ×3, first 2 shown]
	v_pk_add_f16 v8, v26, v63
	v_pk_fma_f16 v26, 0x3400, v64, v32 op_sel_hi:[0,1,1]
	v_pk_fma_f16 v33, 0x2c00, v67, v33 op_sel_hi:[0,1,1]
	;; [unrolled: 1-line block ×3, first 2 shown]
	v_pk_add_f16 v9, v25, v68
	v_pk_fma_f16 v68, 0x2400, v10, v31 op_sel_hi:[0,1,1]
	v_pk_mul_f16 v10, v19, v41
	v_pk_mul_f16 v31, v17, v49
	v_pk_fma_f16 v54, 0x3400, v54, v29 op_sel_hi:[0,1,1]
	v_pk_fma_f16 v55, 0x2c00, v55, v30 op_sel_hi:[0,1,1]
	;; [unrolled: 1-line block ×3, first 2 shown]
	v_pk_add_f16 v7, v27, v60
	v_pk_fma_f16 v27, 0x3400, v61, v35 op_sel_hi:[0,1,1]
	v_pk_fma_f16 v35, 0x2c00, v62, v36 op_sel_hi:[0,1,1]
	;; [unrolled: 1-line block ×4, first 2 shown]
	v_pk_mul_f16 v30, v18, v45
	v_pk_mul_f16 v34, v20, v53
	;; [unrolled: 1-line block ×11, first 2 shown]
	v_and_b32_e32 v47, 0xffff, v10
	v_and_b32_e32 v48, 0xffff, v31
	v_lshrrev_b32_e32 v10, 16, v10
	v_lshrrev_b32_e32 v69, 16, v31
	v_pk_mul_f16 v70, v19, v28
	v_pk_mul_f16 v72, v17, v8
	;; [unrolled: 1-line block ×15, first 2 shown]
	v_and_b32_e32 v63, 0xffff, v36
	v_and_b32_e32 v64, 0xffff, v40
	v_lshrrev_b32_e32 v61, 16, v36
	v_lshrrev_b32_e32 v62, 16, v40
	v_and_b32_e32 v59, 0xffff, v41
	v_and_b32_e32 v60, 0xffff, v42
	v_lshrrev_b32_e32 v55, 16, v41
	v_lshrrev_b32_e32 v56, 16, v42
	;; [unrolled: 4-line block ×3, first 2 shown]
	v_pk_mul_f16 v27, v19, v65
	v_pk_mul_f16 v28, v18, v66
	v_pk_mul_f16 v29, v17, v67
	v_lshl_or_b32 v7, v30, 16, v47
	v_lshl_or_b32 v8, v34, 16, v48
	v_and_or_b32 v9, 0xffff0000, v30, v10
	v_and_or_b32 v10, 0xffff0000, v34, v69
	v_and_b32_e32 v47, 0xffff, v70
	v_and_b32_e32 v48, 0xffff, v72
	v_lshrrev_b32_e32 v45, 16, v70
	v_lshrrev_b32_e32 v46, 16, v72
	v_and_b32_e32 v41, 0xffff, v71
	v_and_b32_e32 v42, 0xffff, v73
	v_lshrrev_b32_e32 v39, 16, v71
	v_lshrrev_b32_e32 v40, 16, v73
	;; [unrolled: 4-line block ×3, first 2 shown]
	v_pk_mul_f16 v30, v20, v68
	s_cbranch_vccnz .LBB3_16
; %bb.14:                               ;   in Loop: Header=BB3_8 Depth=1
	v_mov_b32_e32 v89, s16
	v_lshl_or_b32 v77, v57, 16, v63
	v_lshl_or_b32 v78, v58, 16, v64
	v_and_or_b32 v79, 0xffff0000, v57, v61
	v_and_or_b32 v80, 0xffff0000, v58, v62
	ds_read_b128 v[0:3], v89 offset:64
	ds_read_b128 v[69:72], v89 offset:80
	s_waitcnt lgkmcnt(1)
	v_mad_u64_u32 v[81:82], null, v0, s1, v[4:5]
	v_mad_u64_u32 v[83:84], null, v1, s1, v[4:5]
	;; [unrolled: 1-line block ×4, first 2 shown]
	v_ashrrev_i32_e32 v82, 31, v81
	ds_read_b128 v[73:76], v89 offset:96
	ds_read_b128 v[0:3], v89 offset:112
	v_ashrrev_i32_e32 v84, 31, v83
	s_waitcnt lgkmcnt(2)
	v_mad_u64_u32 v[89:90], null, v69, s1, v[4:5]
	v_ashrrev_i32_e32 v86, 31, v85
	v_lshlrev_b64 v[81:82], 1, v[81:82]
	v_ashrrev_i32_e32 v88, 31, v87
	v_lshlrev_b64 v[83:84], 1, v[83:84]
	v_mad_u64_u32 v[69:70], null, v70, s1, v[4:5]
	v_lshlrev_b64 v[85:86], 1, v[85:86]
	v_lshlrev_b64 v[87:88], 1, v[87:88]
	v_add_co_u32 v81, vcc_lo, s4, v81
	v_add_co_ci_u32_e64 v82, null, s5, v82, vcc_lo
	v_add_co_u32 v83, vcc_lo, s4, v83
	v_add_co_ci_u32_e64 v84, null, s5, v84, vcc_lo
	;; [unrolled: 2-line block ×4, first 2 shown]
	v_ashrrev_i32_e32 v90, 31, v89
	global_store_dwordx2 v[81:82], v[7:8], off
	global_store_dwordx2 v[83:84], v[9:10], off
	;; [unrolled: 1-line block ×4, first 2 shown]
	v_mad_u64_u32 v[81:82], null, v71, s1, v[4:5]
	v_ashrrev_i32_e32 v70, 31, v69
	v_mad_u64_u32 v[71:72], null, v72, s1, v[4:5]
	v_lshlrev_b64 v[79:80], 1, v[89:90]
	v_lshl_or_b32 v77, v49, 16, v59
	v_lshlrev_b64 v[69:70], 1, v[69:70]
	v_ashrrev_i32_e32 v82, 31, v81
	v_lshl_or_b32 v78, v50, 16, v60
	v_and_or_b32 v83, 0xffff0000, v49, v55
	v_add_co_u32 v79, vcc_lo, s4, v79
	v_ashrrev_i32_e32 v72, 31, v71
	v_add_co_ci_u32_e64 v80, null, s5, v80, vcc_lo
	v_add_co_u32 v69, vcc_lo, s4, v69
	v_lshlrev_b64 v[81:82], 1, v[81:82]
	v_and_or_b32 v84, 0xffff0000, v50, v56
	v_add_co_ci_u32_e64 v70, null, s5, v70, vcc_lo
	s_waitcnt lgkmcnt(1)
	v_mad_u64_u32 v[89:90], null, v73, s1, v[4:5]
	v_lshlrev_b64 v[71:72], 1, v[71:72]
	v_mad_u64_u32 v[73:74], null, v74, s1, v[4:5]
	global_store_dwordx2 v[79:80], v[77:78], off
	global_store_dwordx2 v[69:70], v[83:84], off
	v_mad_u64_u32 v[77:78], null, v75, s1, v[4:5]
	v_add_co_u32 v81, vcc_lo, s4, v81
	v_add_co_ci_u32_e64 v82, null, s5, v82, vcc_lo
	v_add_co_u32 v71, vcc_lo, s4, v71
	v_lshl_or_b32 v85, v43, 16, v53
	v_lshl_or_b32 v86, v44, 16, v54
	v_ashrrev_i32_e32 v90, 31, v89
	v_and_or_b32 v87, 0xffff0000, v43, v51
	v_and_or_b32 v88, 0xffff0000, v44, v52
	v_add_co_ci_u32_e64 v72, null, s5, v72, vcc_lo
	v_ashrrev_i32_e32 v74, 31, v73
	v_ashrrev_i32_e32 v78, 31, v77
	global_store_dwordx2 v[81:82], v[85:86], off
	global_store_dwordx2 v[71:72], v[87:88], off
	v_lshlrev_b64 v[71:72], 1, v[89:90]
	v_mad_u64_u32 v[81:82], null, v76, s1, v[4:5]
	v_lshlrev_b64 v[73:74], 1, v[73:74]
	v_lshlrev_b64 v[77:78], 1, v[77:78]
	v_lshl_or_b32 v69, v37, 16, v47
	v_add_co_u32 v71, vcc_lo, s4, v71
	v_add_co_ci_u32_e64 v72, null, s5, v72, vcc_lo
	v_add_co_u32 v73, vcc_lo, s4, v73
	v_lshl_or_b32 v70, v38, 16, v48
	v_add_co_ci_u32_e64 v74, null, s5, v74, vcc_lo
	v_add_co_u32 v77, vcc_lo, s4, v77
	v_and_or_b32 v79, 0xffff0000, v37, v45
	v_and_or_b32 v80, 0xffff0000, v38, v46
	s_waitcnt lgkmcnt(0)
	v_mad_u64_u32 v[83:84], null, v0, s1, v[4:5]
	v_lshl_or_b32 v75, v31, 16, v41
	v_lshl_or_b32 v76, v32, 16, v42
	v_add_co_ci_u32_e64 v78, null, s5, v78, vcc_lo
	v_mad_u64_u32 v[0:1], null, v1, s1, v[4:5]
	global_store_dwordx2 v[71:72], v[69:70], off
	global_store_dwordx2 v[73:74], v[79:80], off
	;; [unrolled: 1-line block ×3, first 2 shown]
	v_mad_u64_u32 v[77:78], null, v2, s1, v[4:5]
	v_ashrrev_i32_e32 v82, 31, v81
	v_ashrrev_i32_e32 v84, 31, v83
	v_pk_mul_f16 v2, v19, v65
	v_ashrrev_i32_e32 v1, 31, v0
	v_pk_mul_f16 v65, v17, v67
	v_lshlrev_b64 v[71:72], 1, v[81:82]
	v_ashrrev_i32_e32 v78, 31, v77
	v_lshlrev_b64 v[75:76], 1, v[83:84]
	v_lshlrev_b64 v[81:82], 1, v[0:1]
	v_pk_mul_f16 v0, v18, v66
	v_pk_mul_f16 v1, v20, v68
	v_add_co_u32 v71, vcc_lo, s4, v71
	v_lshlrev_b64 v[66:67], 1, v[77:78]
	v_add_co_ci_u32_e64 v72, null, s5, v72, vcc_lo
	v_add_co_u32 v75, vcc_lo, s4, v75
	v_and_b32_e32 v68, 0xffff, v2
	v_and_b32_e32 v83, 0xffff, v65
	v_add_co_ci_u32_e64 v76, null, s5, v76, vcc_lo
	v_add_co_u32 v77, vcc_lo, s4, v81
	v_add_co_ci_u32_e64 v78, null, s5, v82, vcc_lo
	v_add_co_u32 v66, vcc_lo, s4, v66
	v_and_or_b32 v69, 0xffff0000, v31, v39
	v_and_or_b32 v70, 0xffff0000, v32, v40
	v_lshl_or_b32 v81, v0, 16, v68
	v_lshl_or_b32 v82, v1, 16, v83
	v_add_co_ci_u32_e64 v67, null, s5, v67, vcc_lo
	v_lshl_or_b32 v73, v26, 16, v35
	v_lshl_or_b32 v74, v25, 16, v36
	v_and_or_b32 v79, 0xffff0000, v26, v34
	v_and_or_b32 v80, 0xffff0000, v25, v33
	global_store_dwordx2 v[71:72], v[69:70], off
	global_store_dwordx2 v[75:76], v[73:74], off
	global_store_dwordx2 v[77:78], v[79:80], off
	global_store_dwordx2 v[66:67], v[81:82], off
	s_cbranch_execnz .LBB3_7
	s_branch .LBB3_17
.LBB3_15:                               ;   in Loop: Header=BB3_8 Depth=1
                                        ; implicit-def: $vgpr3
                                        ; implicit-def: $vgpr1
                                        ; implicit-def: $vgpr81
                                        ; implicit-def: $vgpr0
                                        ; implicit-def: $vgpr2
	s_branch .LBB3_12
.LBB3_16:                               ;   in Loop: Header=BB3_8 Depth=1
                                        ; implicit-def: $vgpr3
                                        ; implicit-def: $vgpr1
                                        ; implicit-def: $vgpr65
                                        ; implicit-def: $vgpr0
                                        ; implicit-def: $vgpr2
.LBB3_17:                               ;   in Loop: Header=BB3_8 Depth=1
	v_add_nc_u32_e32 v0, s34, v11
	v_add_nc_u32_e32 v2, s33, v11
	;; [unrolled: 1-line block ×5, first 2 shown]
	v_ashrrev_i32_e32 v1, 31, v0
	v_ashrrev_i32_e32 v3, 31, v2
	;; [unrolled: 1-line block ×5, first 2 shown]
	v_lshlrev_b64 v[0:1], 1, v[0:1]
	v_lshlrev_b64 v[2:3], 1, v[2:3]
	v_lshlrev_b64 v[65:66], 1, v[65:66]
	v_lshl_or_b32 v59, v49, 16, v59
	v_lshl_or_b32 v60, v50, 16, v60
	;; [unrolled: 1-line block ×3, first 2 shown]
	v_add_co_u32 v0, vcc_lo, s4, v0
	v_add_co_ci_u32_e64 v1, null, s5, v1, vcc_lo
	v_add_co_u32 v2, vcc_lo, s4, v2
	v_add_co_ci_u32_e64 v3, null, s5, v3, vcc_lo
	global_store_dwordx2 v[0:1], v[7:8], off
	global_store_dwordx2 v[2:3], v[9:10], off
	v_lshlrev_b64 v[2:3], 1, v[67:68]
	v_add_co_u32 v7, vcc_lo, s4, v65
	v_lshl_or_b32 v0, v57, 16, v63
	v_lshl_or_b32 v1, v58, 16, v64
	v_and_or_b32 v9, 0xffff0000, v57, v61
	v_and_or_b32 v10, 0xffff0000, v58, v62
	v_lshlrev_b64 v[57:58], 1, v[69:70]
	v_add_co_ci_u32_e64 v8, null, s5, v66, vcc_lo
	v_add_nc_u32_e32 v61, s29, v11
	v_add_co_u32 v2, vcc_lo, s4, v2
	v_add_nc_u32_e32 v63, s26, v11
	v_add_co_ci_u32_e64 v3, null, s5, v3, vcc_lo
	v_add_co_u32 v57, vcc_lo, s4, v57
	global_store_dwordx2 v[7:8], v[0:1], off
	v_add_nc_u32_e32 v0, s27, v11
	v_ashrrev_i32_e32 v62, 31, v61
	v_add_co_ci_u32_e64 v58, null, s5, v58, vcc_lo
	v_ashrrev_i32_e32 v64, 31, v63
	v_ashrrev_i32_e32 v1, 31, v0
	global_store_dwordx2 v[2:3], v[9:10], off
	global_store_dwordx2 v[57:58], v[59:60], off
	v_lshlrev_b64 v[2:3], 1, v[61:62]
	v_and_or_b32 v7, 0xffff0000, v49, v55
	v_lshlrev_b64 v[9:10], 1, v[63:64]
	v_lshlrev_b64 v[0:1], 1, v[0:1]
	v_and_or_b32 v8, 0xffff0000, v50, v56
	v_lshl_or_b32 v49, v43, 16, v53
	v_add_co_u32 v2, vcc_lo, s4, v2
	v_add_co_ci_u32_e64 v3, null, s5, v3, vcc_lo
	v_add_co_u32 v9, vcc_lo, s4, v9
	v_add_co_ci_u32_e64 v10, null, s5, v10, vcc_lo
	v_add_co_u32 v0, vcc_lo, s4, v0
	v_lshl_or_b32 v50, v44, 16, v54
	v_and_or_b32 v43, 0xffff0000, v43, v51
	v_and_or_b32 v44, 0xffff0000, v44, v52
	v_add_nc_u32_e32 v51, s24, v11
	v_add_co_ci_u32_e64 v1, null, s5, v1, vcc_lo
	v_add_nc_u32_e32 v53, s25, v11
	global_store_dwordx2 v[2:3], v[7:8], off
	global_store_dwordx2 v[9:10], v[49:50], off
	;; [unrolled: 1-line block ×3, first 2 shown]
	v_add_nc_u32_e32 v0, s22, v11
	v_ashrrev_i32_e32 v52, 31, v51
	v_ashrrev_i32_e32 v54, 31, v53
	v_add_nc_u32_e32 v43, s23, v11
	v_lshl_or_b32 v7, v37, 16, v47
	v_ashrrev_i32_e32 v1, 31, v0
	v_lshlrev_b64 v[2:3], 1, v[51:52]
	v_lshlrev_b64 v[9:10], 1, v[53:54]
	v_lshl_or_b32 v8, v38, 16, v48
	v_and_or_b32 v37, 0xffff0000, v37, v45
	v_lshlrev_b64 v[0:1], 1, v[0:1]
	v_and_or_b32 v38, 0xffff0000, v38, v46
	v_add_co_u32 v2, vcc_lo, s4, v2
	v_add_co_ci_u32_e64 v3, null, s5, v3, vcc_lo
	v_add_co_u32 v9, vcc_lo, s4, v9
	v_add_co_ci_u32_e64 v10, null, s5, v10, vcc_lo
	v_add_co_u32 v0, vcc_lo, s4, v0
	v_lshl_or_b32 v42, v32, 16, v42
	v_add_co_ci_u32_e64 v1, null, s5, v1, vcc_lo
	v_ashrrev_i32_e32 v44, 31, v43
	global_store_dwordx2 v[2:3], v[7:8], off
	global_store_dwordx2 v[9:10], v[37:38], off
	v_add_nc_u32_e32 v2, s20, v11
	global_store_dwordx2 v[0:1], v[41:42], off
	v_and_or_b32 v7, 0xffff0000, v31, v39
	v_lshlrev_b64 v[0:1], 1, v[43:44]
	v_add_nc_u32_e32 v9, s21, v11
	v_ashrrev_i32_e32 v3, 31, v2
	v_and_or_b32 v8, 0xffff0000, v32, v40
	v_lshl_or_b32 v35, v26, 16, v35
	v_lshl_or_b32 v36, v25, 16, v36
	v_add_co_u32 v31, vcc_lo, s4, v0
	v_add_co_ci_u32_e64 v32, null, s5, v1, vcc_lo
	v_lshlrev_b64 v[0:1], 1, v[2:3]
	v_add_nc_u32_e32 v2, s19, v11
	v_ashrrev_i32_e32 v10, 31, v9
	v_and_or_b32 v39, 0xffff0000, v26, v34
	v_and_or_b32 v40, 0xffff0000, v25, v33
	v_and_b32_e32 v25, 0xffff, v27
	v_ashrrev_i32_e32 v3, 31, v2
	v_add_co_u32 v37, vcc_lo, s4, v0
	v_add_co_ci_u32_e64 v38, null, s5, v1, vcc_lo
	v_lshlrev_b64 v[0:1], 1, v[9:10]
	v_lshlrev_b64 v[2:3], 1, v[2:3]
	v_and_b32_e32 v26, 0xffff, v29
	s_add_i32 s0, s14, 31
	v_mov_b32_e32 v65, v29
	v_lshl_or_b32 v25, v28, 16, v25
	v_add_co_u32 v9, vcc_lo, s4, v0
	v_add_co_ci_u32_e64 v10, null, s5, v1, vcc_lo
	v_add_co_u32 v33, vcc_lo, s4, v2
	v_add_co_ci_u32_e64 v34, null, s5, v3, vcc_lo
	v_mov_b32_e32 v3, s0
	v_mov_b32_e32 v2, v27
	v_mov_b32_e32 v0, v28
	v_mov_b32_e32 v1, v30
	v_lshl_or_b32 v26, v30, 16, v26
	global_store_dwordx2 v[31:32], v[7:8], off
	global_store_dwordx2 v[37:38], v[35:36], off
	;; [unrolled: 1-line block ×4, first 2 shown]
	s_branch .LBB3_7
.LBB3_18:
	s_endpgm
	.section	.rodata,"a",@progbits
	.p2align	6, 0x0
	.amdhsa_kernel _ZN4vllm4gptq31reconstruct_exllama_2bit_kernelEPKjPKiS2_PK6__halfiiibPS5_
		.amdhsa_group_segment_fixed_size 512
		.amdhsa_private_segment_fixed_size 0
		.amdhsa_kernarg_size 56
		.amdhsa_user_sgpr_count 6
		.amdhsa_user_sgpr_private_segment_buffer 1
		.amdhsa_user_sgpr_dispatch_ptr 0
		.amdhsa_user_sgpr_queue_ptr 0
		.amdhsa_user_sgpr_kernarg_segment_ptr 1
		.amdhsa_user_sgpr_dispatch_id 0
		.amdhsa_user_sgpr_flat_scratch_init 0
		.amdhsa_user_sgpr_private_segment_size 0
		.amdhsa_wavefront_size32 1
		.amdhsa_uses_dynamic_stack 0
		.amdhsa_system_sgpr_private_segment_wavefront_offset 0
		.amdhsa_system_sgpr_workgroup_id_x 1
		.amdhsa_system_sgpr_workgroup_id_y 1
		.amdhsa_system_sgpr_workgroup_id_z 0
		.amdhsa_system_sgpr_workgroup_info 0
		.amdhsa_system_vgpr_workitem_id 0
		.amdhsa_next_free_vgpr 108
		.amdhsa_next_free_sgpr 54
		.amdhsa_reserve_vcc 1
		.amdhsa_reserve_flat_scratch 0
		.amdhsa_float_round_mode_32 0
		.amdhsa_float_round_mode_16_64 0
		.amdhsa_float_denorm_mode_32 3
		.amdhsa_float_denorm_mode_16_64 3
		.amdhsa_dx10_clamp 1
		.amdhsa_ieee_mode 1
		.amdhsa_fp16_overflow 0
		.amdhsa_workgroup_processor_mode 1
		.amdhsa_memory_ordered 1
		.amdhsa_forward_progress 1
		.amdhsa_shared_vgpr_count 0
		.amdhsa_exception_fp_ieee_invalid_op 0
		.amdhsa_exception_fp_denorm_src 0
		.amdhsa_exception_fp_ieee_div_zero 0
		.amdhsa_exception_fp_ieee_overflow 0
		.amdhsa_exception_fp_ieee_underflow 0
		.amdhsa_exception_fp_ieee_inexact 0
		.amdhsa_exception_int_div_zero 0
	.end_amdhsa_kernel
	.text
.Lfunc_end3:
	.size	_ZN4vllm4gptq31reconstruct_exllama_2bit_kernelEPKjPKiS2_PK6__halfiiibPS5_, .Lfunc_end3-_ZN4vllm4gptq31reconstruct_exllama_2bit_kernelEPKjPKiS2_PK6__halfiiibPS5_
                                        ; -- End function
	.set _ZN4vllm4gptq31reconstruct_exllama_2bit_kernelEPKjPKiS2_PK6__halfiiibPS5_.num_vgpr, 108
	.set _ZN4vllm4gptq31reconstruct_exllama_2bit_kernelEPKjPKiS2_PK6__halfiiibPS5_.num_agpr, 0
	.set _ZN4vllm4gptq31reconstruct_exllama_2bit_kernelEPKjPKiS2_PK6__halfiiibPS5_.numbered_sgpr, 54
	.set _ZN4vllm4gptq31reconstruct_exllama_2bit_kernelEPKjPKiS2_PK6__halfiiibPS5_.num_named_barrier, 0
	.set _ZN4vllm4gptq31reconstruct_exllama_2bit_kernelEPKjPKiS2_PK6__halfiiibPS5_.private_seg_size, 0
	.set _ZN4vllm4gptq31reconstruct_exllama_2bit_kernelEPKjPKiS2_PK6__halfiiibPS5_.uses_vcc, 1
	.set _ZN4vllm4gptq31reconstruct_exllama_2bit_kernelEPKjPKiS2_PK6__halfiiibPS5_.uses_flat_scratch, 0
	.set _ZN4vllm4gptq31reconstruct_exllama_2bit_kernelEPKjPKiS2_PK6__halfiiibPS5_.has_dyn_sized_stack, 0
	.set _ZN4vllm4gptq31reconstruct_exllama_2bit_kernelEPKjPKiS2_PK6__halfiiibPS5_.has_recursion, 0
	.set _ZN4vllm4gptq31reconstruct_exllama_2bit_kernelEPKjPKiS2_PK6__halfiiibPS5_.has_indirect_call, 0
	.section	.AMDGPU.csdata,"",@progbits
; Kernel info:
; codeLenInByte = 8284
; TotalNumSgprs: 56
; NumVgprs: 108
; ScratchSize: 0
; MemoryBound: 0
; FloatMode: 240
; IeeeMode: 1
; LDSByteSize: 512 bytes/workgroup (compile time only)
; SGPRBlocks: 0
; VGPRBlocks: 13
; NumSGPRsForWavesPerEU: 56
; NumVGPRsForWavesPerEU: 108
; Occupancy: 9
; WaveLimiterHint : 0
; COMPUTE_PGM_RSRC2:SCRATCH_EN: 0
; COMPUTE_PGM_RSRC2:USER_SGPR: 6
; COMPUTE_PGM_RSRC2:TRAP_HANDLER: 0
; COMPUTE_PGM_RSRC2:TGID_X_EN: 1
; COMPUTE_PGM_RSRC2:TGID_Y_EN: 1
; COMPUTE_PGM_RSRC2:TGID_Z_EN: 0
; COMPUTE_PGM_RSRC2:TIDIG_COMP_CNT: 0
	.text
	.protected	_ZN4vllm4gptq32gemm_half_q_half_alt_4bit_kernelEPK7__half2PKjP6__halfPKS6_S5_PKiiiib ; -- Begin function _ZN4vllm4gptq32gemm_half_q_half_alt_4bit_kernelEPK7__half2PKjP6__halfPKS6_S5_PKiiiib
	.globl	_ZN4vllm4gptq32gemm_half_q_half_alt_4bit_kernelEPK7__half2PKjP6__halfPKS6_S5_PKiiiib
	.p2align	8
	.type	_ZN4vllm4gptq32gemm_half_q_half_alt_4bit_kernelEPK7__half2PKjP6__halfPKS6_S5_PKiiiib,@function
_ZN4vllm4gptq32gemm_half_q_half_alt_4bit_kernelEPK7__half2PKjP6__halfPKS6_S5_PKiiiib: ; @_ZN4vllm4gptq32gemm_half_q_half_alt_4bit_kernelEPK7__half2PKjP6__halfPKS6_S5_PKiiiib
; %bb.0:
	s_load_dwordx4 s[0:3], s[6:7], 0x30
	s_lshl_b32 s11, s10, 4
	s_clause 0x1
	s_load_dwordx2 s[20:21], s[6:7], 0x28
	s_load_dwordx8 s[12:19], s[6:7], 0x8
	s_and_b32 s23, s11, 0x1ffffff0
	s_mov_b32 s24, exec_lo
	s_waitcnt lgkmcnt(0)
	s_sub_i32 s11, s1, s23
	v_cvt_f64_u32_e32 v[3:4], s11
	s_lshl_b32 s11, s9, 3
	s_sub_i32 s0, s0, s11
	v_cvt_f64_u32_e32 v[5:6], s0
	v_min_f64 v[3:4], 0x40300000, v[3:4]
	v_min_f64 v[5:6], 0x40200000, v[5:6]
	v_mul_f64 v[3:4], v[3:4], 4.0
	v_cvt_i32_f64_e32 v5, v[5:6]
	v_cvt_i32_f64_e32 v3, v[3:4]
	v_readfirstlane_b32 s22, v5
	v_readfirstlane_b32 s0, v3
	v_cmpx_lt_u32_e64 v0, v3
	s_cbranch_execz .LBB4_4
; %bb.1:
	s_cmp_lt_i32 s22, 1
	s_cbranch_scc1 .LBB4_4
; %bb.2:
	s_load_dwordx2 s[6:7], s[6:7], 0x0
	s_lshl_b32 s10, s10, 6
	s_mul_i32 s9, s9, s1
	s_and_b32 s10, s10, 0x7fffffc0
	s_lshl_b32 s9, s9, 5
	v_lshl_or_b32 v5, v0, 2, 0x2000
	v_add3_u32 v3, s10, s9, v0
	v_mov_b32_e32 v4, 0
	s_lshl_b32 s1, s1, 2
	s_mov_b32 s9, s22
.LBB4_3:                                ; =>This Inner Loop Header: Depth=1
	v_lshlrev_b64 v[6:7], 2, v[3:4]
	v_add_nc_u32_e32 v3, s1, v3
	s_add_i32 s9, s9, -1
	s_cmp_lg_u32 s9, 0
	s_waitcnt lgkmcnt(0)
	v_add_co_u32 v6, vcc_lo, s6, v6
	v_add_co_ci_u32_e64 v7, null, s7, v7, vcc_lo
	global_load_dword v6, v[6:7], off
	s_waitcnt vmcnt(0)
	ds_write_b32 v5, v6
	v_add_nc_u32_e32 v5, 0x100, v5
	s_cbranch_scc1 .LBB4_3
.LBB4_4:
	s_or_b32 exec_lo, exec_lo, s24
	v_bfe_u32 v3, v0, 3, 4
	v_and_b32_e32 v4, 7, v0
	v_lshrrev_b32_e32 v7, 3, v0
	s_mov_b32 s1, 0
	v_cvt_f32_ubyte0_e32 v5, v3
	v_lshlrev_b32_e32 v6, 2, v4
	v_lshrrev_b32_e32 v3, 7, v0
	v_add_nc_u32_e32 v4, -16, v7
	v_cvt_f16_f32_e32 v5, v5
	v_lshl_or_b32 v7, v7, 5, v6
.LBB4_5:                                ; =>This Inner Loop Header: Depth=1
	v_cvt_f32_u32_e32 v8, v3
	v_add_nc_u32_e32 v4, 16, v4
	v_add_nc_u32_e32 v3, 1, v3
	v_cvt_f16_f32_sdwa v8, v8 dst_sel:WORD_1 dst_unused:UNUSED_PAD src0_sel:DWORD
	v_cmp_lt_u32_e32 vcc_lo, 0xef, v4
	v_or_b32_sdwa v8, v8, v5 dst_sel:DWORD dst_unused:UNUSED_PAD src0_sel:DWORD src1_sel:WORD_0
	s_or_b32 s1, vcc_lo, s1
	ds_write_b32 v7, v8
	v_add_nc_u32_e32 v7, 0x200, v7
	s_andn2_b32 exec_lo, exec_lo, s1
	s_cbranch_execnz .LBB4_5
; %bb.6:
	s_or_b32 exec_lo, exec_lo, s1
	s_load_dwordx2 s[4:5], s[4:5], 0x4
	v_lshl_add_u32 v5, s8, 7, v0
	s_waitcnt lgkmcnt(0)
	s_barrier
	buffer_gl0_inv
	s_lshr_b32 s1, s4, 16
	s_cmp_lt_i32 s0, 1
	s_mul_i32 s1, s1, s5
	v_mul_lo_u32 v3, s1, v0
	s_mov_b32 s1, 0
	v_mad_u32_u24 v3, v1, s5, v3
	v_mov_b32_e32 v1, 0
	v_add_lshl_u32 v7, v3, v2, 4
	v_mov_b32_e32 v2, v1
	v_mov_b32_e32 v3, v1
	;; [unrolled: 1-line block ×3, first 2 shown]
	v_add_nc_u32_e32 v8, 0x2800, v7
	ds_write_b128 v7, v[1:4] offset:10240
	s_cbranch_scc1 .LBB4_12
; %bb.7:
	s_ashr_i32 s4, s2, 31
	v_lshlrev_b32_e32 v0, 2, v0
	s_lshr_b32 s4, s4, 29
	v_mad_u64_u32 v[3:4], null, s2, s23, v[5:6]
	s_add_i32 s4, s2, s4
	s_and_b32 s9, s3, 1
	s_lshl_b32 s8, s23, 3
	v_lshrrev_b32_e32 v2, 3, v5
	s_ashr_i32 s3, s4, 3
	s_add_i32 s9, s9, -1
	v_and_b32_e32 v0, 28, v0
	s_cmp_gt_i32 s22, 0
	s_movk_i32 s24, 0x2000
	s_cselect_b32 s10, -1, 0
	s_ashr_i32 s23, s8, 31
	s_branch .LBB4_9
.LBB4_8:                                ;   in Loop: Header=BB4_9 Depth=1
	v_add_nc_u32_e32 v3, s2, v3
	s_add_i32 s1, s1, 4
	s_add_i32 s24, s24, 16
	s_cmp_ge_i32 s1, s0
	s_cbranch_scc1 .LBB4_12
.LBB4_9:                                ; =>This Loop Header: Depth=1
                                        ;     Child Loop BB4_11 Depth 2
	s_andn2_b32 vcc_lo, exec_lo, s10
	s_cbranch_vccnz .LBB4_8
; %bb.10:                               ;   in Loop: Header=BB4_9 Depth=1
	s_lshl_b32 s25, s1, 1
	v_ashrrev_i32_e32 v4, 31, v3
	s_ashr_i32 s5, s25, 31
	s_add_u32 s4, s25, s8
	s_addc_u32 s5, s5, s23
	s_lshl_b64 s[4:5], s[4:5], 2
	s_add_u32 s4, s20, s4
	s_addc_u32 s5, s21, s5
	s_clause 0x1
	s_load_dwordx2 s[26:27], s[4:5], 0x18
	s_load_dwordx4 s[4:7], s[4:5], 0x8
	s_waitcnt lgkmcnt(0)
	v_mad_u64_u32 v[11:12], null, s26, s3, v[2:3]
	v_mad_u64_u32 v[9:10], null, s26, s2, v[5:6]
	;; [unrolled: 1-line block ×4, first 2 shown]
	v_mov_b32_e32 v10, v1
	v_mov_b32_e32 v14, v1
	v_ashrrev_i32_e32 v12, 31, v11
	v_mad_u64_u32 v[17:18], null, s6, s2, v[5:6]
	v_lshlrev_b64 v[9:10], 1, v[9:10]
	v_ashrrev_i32_e32 v16, 31, v15
	v_lshlrev_b64 v[13:14], 1, v[13:14]
	v_mad_u64_u32 v[19:20], null, s6, s3, v[2:3]
	v_lshlrev_b64 v[11:12], 2, v[11:12]
	v_mov_b32_e32 v18, v1
	v_lshlrev_b64 v[15:16], 2, v[15:16]
	v_add_co_u32 v9, vcc_lo, s16, v9
	v_add_co_ci_u32_e64 v10, null, s17, v10, vcc_lo
	v_add_co_u32 v13, vcc_lo, s16, v13
	v_add_co_ci_u32_e64 v14, null, s17, v14, vcc_lo
	v_add_co_u32 v11, vcc_lo, s18, v11
	v_lshlrev_b64 v[17:18], 1, v[17:18]
	v_ashrrev_i32_e32 v20, 31, v19
	v_add_co_ci_u32_e64 v12, null, s19, v12, vcc_lo
	v_add_co_u32 v15, vcc_lo, s18, v15
	v_add_co_ci_u32_e64 v16, null, s19, v16, vcc_lo
	s_clause 0x1
	global_load_ushort v7, v[9:10], off
	global_load_ushort v9, v[13:14], off
	s_clause 0x1
	global_load_dword v22, v[11:12], off
	global_load_dword v23, v[15:16], off
	v_mad_u64_u32 v[14:15], null, s7, s2, v[5:6]
	v_add_co_u32 v17, vcc_lo, s16, v17
	v_lshlrev_b64 v[10:11], 2, v[19:20]
	v_mad_u64_u32 v[12:13], null, s7, s3, v[2:3]
	v_add_co_ci_u32_e64 v18, null, s17, v18, vcc_lo
	v_mov_b32_e32 v15, v1
	v_add_co_u32 v10, vcc_lo, s18, v10
	global_load_ushort v24, v[17:18], off
	v_mad_u64_u32 v[16:17], null, s4, s2, v[5:6]
	v_lshlrev_b64 v[14:15], 1, v[14:15]
	v_add_co_ci_u32_e64 v11, null, s19, v11, vcc_lo
	v_ashrrev_i32_e32 v13, 31, v12
	v_mov_b32_e32 v17, v1
	s_add_i32 s6, s25, s8
	global_load_dword v25, v[10:11], off
	s_ashr_i32 s7, s6, 31
	v_lshlrev_b64 v[10:11], 2, v[12:13]
	v_add_co_u32 v12, vcc_lo, s16, v14
	v_add_co_ci_u32_e64 v13, null, s17, v15, vcc_lo
	v_lshlrev_b64 v[14:15], 1, v[16:17]
	v_mad_u64_u32 v[16:17], null, s4, s3, v[2:3]
	s_lshl_b64 s[6:7], s[6:7], 2
	v_add_co_u32 v10, vcc_lo, s18, v10
	s_add_u32 s6, s20, s6
	s_addc_u32 s7, s21, s7
	v_add_co_ci_u32_e64 v11, null, s19, v11, vcc_lo
	v_ashrrev_i32_e32 v17, 31, v16
	s_load_dwordx2 s[6:7], s[6:7], 0x0
	v_add_co_u32 v14, vcc_lo, s16, v14
	v_add_co_ci_u32_e64 v15, null, s17, v15, vcc_lo
	global_load_dword v27, v[10:11], off
	v_lshlrev_b64 v[10:11], 2, v[16:17]
	v_lshlrev_b64 v[16:17], 2, v[3:4]
	s_clause 0x1
	global_load_ushort v26, v[12:13], off
	global_load_ushort v28, v[14:15], off
	v_mad_u64_u32 v[14:15], null, s5, s3, v[2:3]
	v_mad_u64_u32 v[12:13], null, s5, s2, v[5:6]
	v_add_co_u32 v10, vcc_lo, s18, v10
	v_add_co_ci_u32_e64 v11, null, s19, v11, vcc_lo
	v_add_co_u32 v16, vcc_lo, s12, v16
	v_mov_b32_e32 v13, v1
	v_add_co_ci_u32_e64 v17, null, s13, v17, vcc_lo
	v_ashrrev_i32_e32 v15, 31, v14
	s_waitcnt lgkmcnt(0)
	v_mad_u64_u32 v[18:19], null, s6, s3, v[2:3]
	v_lshlrev_b64 v[12:13], 1, v[12:13]
	global_load_dword v4, v[16:17], off
	v_mad_u64_u32 v[16:17], null, s7, s2, v[5:6]
	v_lshlrev_b64 v[14:15], 2, v[14:15]
	v_mad_u64_u32 v[20:21], null, s7, s3, v[2:3]
	v_mov_b32_e32 v17, v1
	v_add_co_u32 v12, vcc_lo, s16, v12
	v_add_co_ci_u32_e64 v13, null, s17, v13, vcc_lo
	v_add_co_u32 v14, vcc_lo, s18, v14
	v_ashrrev_i32_e32 v19, 31, v18
	global_load_dword v29, v[10:11], off
	v_lshlrev_b64 v[10:11], 1, v[16:17]
	v_add_co_ci_u32_e64 v15, null, s19, v15, vcc_lo
	v_ashrrev_i32_e32 v21, 31, v20
	global_load_ushort v16, v[12:13], off
	global_load_dword v17, v[14:15], off
	v_lshlrev_b64 v[12:13], 2, v[18:19]
	v_add_co_u32 v10, vcc_lo, s16, v10
	v_lshlrev_b64 v[14:15], 2, v[20:21]
	v_add_co_ci_u32_e64 v11, null, s17, v11, vcc_lo
	v_add_co_u32 v12, vcc_lo, s18, v12
	v_add_co_ci_u32_e64 v13, null, s19, v13, vcc_lo
	global_load_ushort v18, v[10:11], off
	v_add_co_u32 v10, vcc_lo, s18, v14
	v_add_co_ci_u32_e64 v11, null, s19, v15, vcc_lo
	s_clause 0x1
	global_load_dword v12, v[12:13], off
	global_load_dword v13, v[10:11], off
	v_mad_u64_u32 v[10:11], null, s6, s2, v[5:6]
	v_mov_b32_e32 v11, v1
	s_mov_b32 s4, s24
	s_mov_b32 s5, s22
	v_lshlrev_b64 v[10:11], 1, v[10:11]
	v_add_co_u32 v10, vcc_lo, s16, v10
	v_add_co_ci_u32_e64 v11, null, s17, v11, vcc_lo
	global_load_ushort v10, v[10:11], off
	s_waitcnt vmcnt(14)
	v_bfe_u32 v22, v22, v0, 4
	s_waitcnt vmcnt(13)
	v_bfe_u32 v23, v23, v0, 4
	v_sub_nc_u32_e32 v22, s9, v22
	v_sub_nc_u32_e32 v23, s9, v23
	v_cvt_f32_i32_e32 v22, v22
	v_cvt_f32_i32_e32 v23, v23
	v_cvt_f16_f32_e32 v22, v22
	v_cvt_f16_f32_e32 v23, v23
	s_waitcnt vmcnt(9)
	v_lshlrev_b32_e32 v20, 16, v26
	v_or_b32_sdwa v20, v20, v24 dst_sel:DWORD dst_unused:UNUSED_PAD src0_sel:DWORD src1_sel:WORD_0
	s_waitcnt vmcnt(7)
	v_and_b32_e32 v11, 0xff, v4
	v_bfe_u32 v14, v4, 8, 8
	v_bfe_u32 v15, v4, 16, 8
	v_lshrrev_b32_e32 v4, 24, v4
	v_lshl_or_b32 v11, v11, 5, v6
	v_lshl_or_b32 v14, v14, 5, v6
	;; [unrolled: 1-line block ×4, first 2 shown]
	ds_read_b32 v11, v11
	ds_read_b32 v14, v14
	;; [unrolled: 1-line block ×4, first 2 shown]
	v_lshlrev_b32_e32 v4, 16, v9
	v_mul_f16_e32 v9, v9, v23
	v_or_b32_sdwa v30, v4, v7 dst_sel:DWORD dst_unused:UNUSED_PAD src0_sel:DWORD src1_sel:WORD_0
	v_bfe_u32 v4, v25, v0, 4
	v_bfe_u32 v25, v27, v0, 4
	s_waitcnt vmcnt(6)
	v_bfe_u32 v27, v29, v0, 4
	s_waitcnt vmcnt(4)
	v_bfe_u32 v17, v17, v0, 4
	v_lshlrev_b32_e32 v21, 16, v16
	v_sub_nc_u32_e32 v4, s9, v4
	v_sub_nc_u32_e32 v25, s9, v25
	;; [unrolled: 1-line block ×4, first 2 shown]
	v_mul_f16_e32 v7, v7, v22
	v_cvt_f32_i32_e32 v4, v4
	v_cvt_f32_i32_e32 v25, v25
	;; [unrolled: 1-line block ×4, first 2 shown]
	s_waitcnt vmcnt(3)
	v_lshlrev_b32_e32 v29, 16, v18
	v_cvt_f16_f32_e32 v4, v4
	v_cvt_f16_f32_e32 v25, v25
	;; [unrolled: 1-line block ×4, first 2 shown]
	v_or_b32_sdwa v21, v21, v28 dst_sel:DWORD dst_unused:UNUSED_PAD src0_sel:DWORD src1_sel:WORD_0
	s_waitcnt vmcnt(2)
	v_bfe_u32 v12, v12, v0, 4
	s_waitcnt vmcnt(1)
	v_bfe_u32 v13, v13, v0, 4
	v_mul_f16_e32 v4, v24, v4
	v_mul_f16_e32 v22, v28, v27
	;; [unrolled: 1-line block ×3, first 2 shown]
	v_sub_nc_u32_e32 v12, s9, v12
	v_sub_nc_u32_e32 v13, s9, v13
	v_mul_f16_e32 v17, v26, v25
	v_pack_b32_f16 v9, v7, v9
	v_pack_b32_f16 v16, v22, v16
	v_cvt_f32_i32_e32 v12, v12
	v_cvt_f32_i32_e32 v13, v13
	v_pack_b32_f16 v17, v4, v17
	s_waitcnt lgkmcnt(0)
	v_pk_fma_f16 v9, v19, v30, v9
	v_pk_fma_f16 v4, v14, v21, v16
	v_cvt_f16_f32_e32 v12, v12
	v_cvt_f16_f32_e32 v13, v13
	v_pk_fma_f16 v7, v15, v20, v17
	v_mul_f16_e32 v13, v18, v13
	s_waitcnt vmcnt(0)
	v_mul_f16_e32 v12, v10, v12
	v_or_b32_sdwa v10, v29, v10 dst_sel:DWORD dst_unused:UNUSED_PAD src0_sel:DWORD src1_sel:WORD_0
	v_pack_b32_f16 v12, v12, v13
	v_pk_fma_f16 v10, v11, v10, v12
	v_mov_b32_e32 v11, v8
	.p2align	6
.LBB4_11:                               ;   Parent Loop BB4_9 Depth=1
                                        ; =>  This Inner Loop Header: Depth=2
	v_mov_b32_e32 v12, s4
	s_add_i32 s5, s5, -1
	s_addk_i32 s4, 0x100
	s_cmp_eq_u32 s5, 0
	ds_read_b128 v[12:15], v12
	s_waitcnt lgkmcnt(0)
	v_pk_fma_f16 v12, v10, v12, 0
	v_pk_fma_f16 v12, v4, v13, v12
	ds_read_u16 v13, v11
	v_pk_fma_f16 v12, v7, v14, v12
	v_pk_fma_f16 v12, v9, v15, v12
	v_cvt_u16_f16_e32 v14, v12
	v_cvt_u16_f16_sdwa v12, v12 dst_sel:DWORD dst_unused:UNUSED_PAD src0_sel:WORD_1
	v_add_f16_e32 v12, v14, v12
	s_waitcnt lgkmcnt(0)
	v_add_f16_e32 v12, v13, v12
	ds_write_b16 v11, v12
	v_add_nc_u32_e32 v11, 2, v11
	s_cbranch_scc0 .LBB4_11
	s_branch .LBB4_8
.LBB4_12:
	s_cmp_lt_i32 s22, 1
	s_cbranch_scc1 .LBB4_21
; %bb.13:
	v_mov_b32_e32 v1, 0
	s_mov_b32 s3, 0
	s_branch .LBB4_15
.LBB4_14:                               ;   in Loop: Header=BB4_15 Depth=1
	s_inst_prefetch 0x2
	s_or_b32 exec_lo, exec_lo, s4
	s_add_i32 s3, s3, 1
	s_cmp_eq_u32 s3, s22
	s_cbranch_scc1 .LBB4_21
.LBB4_15:                               ; =>This Loop Header: Depth=1
                                        ;     Child Loop BB4_17 Depth 2
	s_add_i32 s0, s3, s11
	s_mov_b32 s4, 0
	v_mad_u64_u32 v[2:3], null, s0, s2, v[5:6]
	v_mov_b32_e32 v3, v1
	v_lshlrev_b64 v[2:3], 1, v[2:3]
	v_add_co_u32 v2, vcc_lo, s14, v2
	v_add_co_ci_u32_e64 v3, null, s15, v3, vcc_lo
	v_and_b32_e32 v0, 2, v2
	v_sub_co_u32 v4, s0, 0, v0
	v_sub_co_ci_u32_e64 v6, null, 0, 0, s0
	v_cmp_ne_u32_e64 s0, 0, v0
	v_add_co_u32 v2, vcc_lo, v2, v4
	v_add_co_ci_u32_e64 v3, null, v3, v6, vcc_lo
	v_lshl_add_u32 v4, s3, 1, v8
	v_cmp_eq_u64_e32 vcc_lo, 0, v[0:1]
	global_load_dword v7, v[2:3], off
	ds_read_u16 v4, v4
	s_inst_prefetch 0x1
	s_branch .LBB4_17
	.p2align	6
.LBB4_16:                               ;   in Loop: Header=BB4_17 Depth=2
	s_or_b32 exec_lo, exec_lo, s1
	global_atomic_cmpswap v0, v[2:3], v[6:7], off glc
	s_waitcnt vmcnt(0)
	v_cmp_eq_u32_e64 s1, v7, v0
	v_mov_b32_e32 v7, v0
	s_or_b32 s4, s1, s4
	s_andn2_b32 exec_lo, exec_lo, s4
	s_cbranch_execz .LBB4_14
.LBB4_17:                               ;   Parent Loop BB4_15 Depth=1
                                        ; =>  This Inner Loop Header: Depth=2
	s_waitcnt vmcnt(0)
	v_cndmask_b32_sdwa v0, v7, v7, vcc_lo dst_sel:DWORD dst_unused:UNUSED_PAD src0_sel:WORD_1 src1_sel:DWORD
	s_waitcnt lgkmcnt(0)
	v_add_f16_e32 v0, v4, v0
	v_and_b32_e32 v0, 0xffff, v0
	s_and_saveexec_b32 s1, s0
	s_xor_b32 s1, exec_lo, s1
; %bb.18:                               ;   in Loop: Header=BB4_17 Depth=2
	v_and_b32_e32 v6, 0xffff, v7
	v_lshl_or_b32 v6, v0, 16, v6
                                        ; implicit-def: $vgpr0
; %bb.19:                               ;   in Loop: Header=BB4_17 Depth=2
	s_andn2_saveexec_b32 s1, s1
	s_cbranch_execz .LBB4_16
; %bb.20:                               ;   in Loop: Header=BB4_17 Depth=2
	v_and_or_b32 v6, 0xffff0000, v7, v0
	s_branch .LBB4_16
.LBB4_21:
	s_endpgm
	.section	.rodata,"a",@progbits
	.p2align	6, 0x0
	.amdhsa_kernel _ZN4vllm4gptq32gemm_half_q_half_alt_4bit_kernelEPK7__half2PKjP6__halfPKS6_S5_PKiiiib
		.amdhsa_group_segment_fixed_size 26624
		.amdhsa_private_segment_fixed_size 0
		.amdhsa_kernarg_size 64
		.amdhsa_user_sgpr_count 8
		.amdhsa_user_sgpr_private_segment_buffer 1
		.amdhsa_user_sgpr_dispatch_ptr 1
		.amdhsa_user_sgpr_queue_ptr 0
		.amdhsa_user_sgpr_kernarg_segment_ptr 1
		.amdhsa_user_sgpr_dispatch_id 0
		.amdhsa_user_sgpr_flat_scratch_init 0
		.amdhsa_user_sgpr_private_segment_size 0
		.amdhsa_wavefront_size32 1
		.amdhsa_uses_dynamic_stack 0
		.amdhsa_system_sgpr_private_segment_wavefront_offset 0
		.amdhsa_system_sgpr_workgroup_id_x 1
		.amdhsa_system_sgpr_workgroup_id_y 1
		.amdhsa_system_sgpr_workgroup_id_z 1
		.amdhsa_system_sgpr_workgroup_info 0
		.amdhsa_system_vgpr_workitem_id 2
		.amdhsa_next_free_vgpr 31
		.amdhsa_next_free_sgpr 28
		.amdhsa_reserve_vcc 1
		.amdhsa_reserve_flat_scratch 0
		.amdhsa_float_round_mode_32 0
		.amdhsa_float_round_mode_16_64 0
		.amdhsa_float_denorm_mode_32 3
		.amdhsa_float_denorm_mode_16_64 3
		.amdhsa_dx10_clamp 1
		.amdhsa_ieee_mode 1
		.amdhsa_fp16_overflow 0
		.amdhsa_workgroup_processor_mode 1
		.amdhsa_memory_ordered 1
		.amdhsa_forward_progress 1
		.amdhsa_shared_vgpr_count 0
		.amdhsa_exception_fp_ieee_invalid_op 0
		.amdhsa_exception_fp_denorm_src 0
		.amdhsa_exception_fp_ieee_div_zero 0
		.amdhsa_exception_fp_ieee_overflow 0
		.amdhsa_exception_fp_ieee_underflow 0
		.amdhsa_exception_fp_ieee_inexact 0
		.amdhsa_exception_int_div_zero 0
	.end_amdhsa_kernel
	.text
.Lfunc_end4:
	.size	_ZN4vllm4gptq32gemm_half_q_half_alt_4bit_kernelEPK7__half2PKjP6__halfPKS6_S5_PKiiiib, .Lfunc_end4-_ZN4vllm4gptq32gemm_half_q_half_alt_4bit_kernelEPK7__half2PKjP6__halfPKS6_S5_PKiiiib
                                        ; -- End function
	.set _ZN4vllm4gptq32gemm_half_q_half_alt_4bit_kernelEPK7__half2PKjP6__halfPKS6_S5_PKiiiib.num_vgpr, 31
	.set _ZN4vllm4gptq32gemm_half_q_half_alt_4bit_kernelEPK7__half2PKjP6__halfPKS6_S5_PKiiiib.num_agpr, 0
	.set _ZN4vllm4gptq32gemm_half_q_half_alt_4bit_kernelEPK7__half2PKjP6__halfPKS6_S5_PKiiiib.numbered_sgpr, 28
	.set _ZN4vllm4gptq32gemm_half_q_half_alt_4bit_kernelEPK7__half2PKjP6__halfPKS6_S5_PKiiiib.num_named_barrier, 0
	.set _ZN4vllm4gptq32gemm_half_q_half_alt_4bit_kernelEPK7__half2PKjP6__halfPKS6_S5_PKiiiib.private_seg_size, 0
	.set _ZN4vllm4gptq32gemm_half_q_half_alt_4bit_kernelEPK7__half2PKjP6__halfPKS6_S5_PKiiiib.uses_vcc, 1
	.set _ZN4vllm4gptq32gemm_half_q_half_alt_4bit_kernelEPK7__half2PKjP6__halfPKS6_S5_PKiiiib.uses_flat_scratch, 0
	.set _ZN4vllm4gptq32gemm_half_q_half_alt_4bit_kernelEPK7__half2PKjP6__halfPKS6_S5_PKiiiib.has_dyn_sized_stack, 0
	.set _ZN4vllm4gptq32gemm_half_q_half_alt_4bit_kernelEPK7__half2PKjP6__halfPKS6_S5_PKiiiib.has_recursion, 0
	.set _ZN4vllm4gptq32gemm_half_q_half_alt_4bit_kernelEPK7__half2PKjP6__halfPKS6_S5_PKiiiib.has_indirect_call, 0
	.section	.AMDGPU.csdata,"",@progbits
; Kernel info:
; codeLenInByte = 2360
; TotalNumSgprs: 30
; NumVgprs: 31
; ScratchSize: 0
; MemoryBound: 0
; FloatMode: 240
; IeeeMode: 1
; LDSByteSize: 26624 bytes/workgroup (compile time only)
; SGPRBlocks: 0
; VGPRBlocks: 3
; NumSGPRsForWavesPerEU: 30
; NumVGPRsForWavesPerEU: 31
; Occupancy: 16
; WaveLimiterHint : 1
; COMPUTE_PGM_RSRC2:SCRATCH_EN: 0
; COMPUTE_PGM_RSRC2:USER_SGPR: 8
; COMPUTE_PGM_RSRC2:TRAP_HANDLER: 0
; COMPUTE_PGM_RSRC2:TGID_X_EN: 1
; COMPUTE_PGM_RSRC2:TGID_Y_EN: 1
; COMPUTE_PGM_RSRC2:TGID_Z_EN: 1
; COMPUTE_PGM_RSRC2:TIDIG_COMP_CNT: 2
	.text
	.protected	_ZN4vllm4gptq32gemm_half_q_half_alt_8bit_kernelEPK7__half2PKjP6__halfPKS6_S5_PKiiiib ; -- Begin function _ZN4vllm4gptq32gemm_half_q_half_alt_8bit_kernelEPK7__half2PKjP6__halfPKS6_S5_PKiiiib
	.globl	_ZN4vllm4gptq32gemm_half_q_half_alt_8bit_kernelEPK7__half2PKjP6__halfPKS6_S5_PKiiiib
	.p2align	8
	.type	_ZN4vllm4gptq32gemm_half_q_half_alt_8bit_kernelEPK7__half2PKjP6__halfPKS6_S5_PKiiiib,@function
_ZN4vllm4gptq32gemm_half_q_half_alt_8bit_kernelEPK7__half2PKjP6__halfPKS6_S5_PKiiiib: ; @_ZN4vllm4gptq32gemm_half_q_half_alt_8bit_kernelEPK7__half2PKjP6__halfPKS6_S5_PKiiiib
; %bb.0:
	s_load_dwordx4 s[0:3], s[6:7], 0x30
	s_lshl_b32 s11, s10, 5
	s_lshl_b32 s14, s9, 3
	s_and_b32 s20, s11, 0x3fffffe0
	s_waitcnt lgkmcnt(0)
	s_sub_i32 s11, s1, s20
	s_sub_i32 s0, s0, s14
	v_cvt_f64_u32_e32 v[3:4], s11
	v_cvt_f64_u32_e32 v[5:6], s0
	s_mov_b32 s0, exec_lo
	v_min_f64 v[3:4], 0x40400000, v[3:4]
	v_min_f64 v[5:6], 0x40200000, v[5:6]
	v_add_f64 v[3:4], v[3:4], v[3:4]
	v_cvt_i32_f64_e32 v5, v[5:6]
	v_cvt_i32_f64_e32 v3, v[3:4]
	v_readfirstlane_b32 s15, v5
	v_readfirstlane_b32 s16, v3
	v_cmpx_lt_u32_e64 v0, v3
	s_cbranch_execz .LBB5_4
; %bb.1:
	s_cmp_lt_i32 s15, 1
	s_cbranch_scc1 .LBB5_4
; %bb.2:
	s_load_dwordx2 s[12:13], s[6:7], 0x0
	s_lshl_b32 s10, s10, 6
	s_mul_i32 s9, s9, s1
	s_and_b32 s10, s10, 0x7fffffc0
	s_lshl_b32 s9, s9, 4
	v_lshlrev_b32_e32 v5, 2, v0
	v_add3_u32 v3, s10, s9, v0
	v_mov_b32_e32 v4, 0
	s_lshl_b32 s1, s1, 1
	s_mov_b32 s9, s15
.LBB5_3:                                ; =>This Inner Loop Header: Depth=1
	v_lshlrev_b64 v[6:7], 2, v[3:4]
	v_add_nc_u32_e32 v3, s1, v3
	s_add_i32 s9, s9, -1
	s_cmp_lg_u32 s9, 0
	s_waitcnt lgkmcnt(0)
	v_add_co_u32 v6, vcc_lo, s12, v6
	v_add_co_ci_u32_e64 v7, null, s13, v7, vcc_lo
	global_load_dword v6, v[6:7], off
	s_waitcnt vmcnt(0)
	ds_write_b32 v5, v6
	v_add_nc_u32_e32 v5, 0x100, v5
	s_cbranch_scc1 .LBB5_3
.LBB5_4:
	s_or_b32 exec_lo, exec_lo, s0
	s_load_dwordx2 s[0:1], s[4:5], 0x4
	v_lshl_add_u32 v5, s8, 7, v0
	s_mov_b32 s17, 0
	s_waitcnt lgkmcnt(0)
	s_barrier
	buffer_gl0_inv
	s_lshr_b32 s0, s0, 16
	s_cmp_lt_i32 s16, 1
	s_mul_i32 s0, s0, s1
	v_mul_lo_u32 v3, s0, v0
	v_mad_u32_u24 v3, v1, s1, v3
	v_mov_b32_e32 v1, 0
	v_add_lshl_u32 v6, v3, v2, 4
	v_mov_b32_e32 v2, v1
	v_mov_b32_e32 v3, v1
	;; [unrolled: 1-line block ×3, first 2 shown]
	v_add_nc_u32_e32 v8, 0x800, v6
	ds_write_b128 v6, v[1:4] offset:2048
	s_cbranch_scc1 .LBB5_10
; %bb.5:
	s_clause 0x2
	s_load_dwordx2 s[0:1], s[6:7], 0x8
	s_load_dwordx4 s[8:11], s[6:7], 0x18
	s_load_dwordx2 s[4:5], s[6:7], 0x28
	s_ashr_i32 s12, s2, 31
	v_lshlrev_b32_e32 v0, 3, v0
	s_lshr_b32 s12, s12, 30
	v_mad_u64_u32 v[3:4], null, s2, s20, v[5:6]
	s_add_i32 s12, s2, s12
	s_and_b32 s19, s3, 1
	s_lshl_b32 s18, s20, 2
	v_lshrrev_b32_e32 v2, 2, v5
	s_ashr_i32 s3, s12, 2
	s_add_i32 s19, s19, -1
	v_and_b32_e32 v0, 24, v0
	s_cmp_gt_i32 s15, 0
	s_mov_b32 s22, 0
	s_cselect_b32 s20, -1, 0
	s_ashr_i32 s21, s18, 31
	s_branch .LBB5_7
.LBB5_6:                                ;   in Loop: Header=BB5_7 Depth=1
	v_add_nc_u32_e32 v3, s2, v3
	s_add_i32 s22, s22, 2
	s_add_i32 s17, s17, 8
	s_cmp_ge_i32 s22, s16
	s_cbranch_scc1 .LBB5_10
.LBB5_7:                                ; =>This Loop Header: Depth=1
                                        ;     Child Loop BB5_9 Depth 2
	s_andn2_b32 vcc_lo, exec_lo, s20
	s_cbranch_vccnz .LBB5_6
; %bb.8:                                ;   in Loop: Header=BB5_7 Depth=1
	s_lshl_b32 s23, s22, 1
	v_ashrrev_i32_e32 v4, 31, v3
	s_ashr_i32 s13, s23, 31
	s_add_u32 s12, s23, s18
	s_addc_u32 s13, s13, s21
	v_lshlrev_b64 v[6:7], 2, v[3:4]
	s_lshl_b64 s[12:13], s[12:13], 2
	s_waitcnt lgkmcnt(0)
	s_add_u32 s12, s4, s12
	s_addc_u32 s13, s5, s13
	s_add_i32 s24, s23, s18
	s_load_dwordx2 s[12:13], s[12:13], 0x8
	s_ashr_i32 s25, s24, 31
	s_lshl_b64 s[24:25], s[24:25], 2
	s_add_u32 s24, s4, s24
	s_addc_u32 s25, s5, s25
	s_load_dwordx2 s[24:25], s[24:25], 0x0
	s_waitcnt lgkmcnt(0)
	v_mad_u64_u32 v[9:10], null, s12, s3, v[2:3]
	v_mad_u64_u32 v[13:14], null, s13, s3, v[2:3]
	;; [unrolled: 1-line block ×3, first 2 shown]
	v_mov_b32_e32 v16, v1
	v_mad_u64_u32 v[11:12], null, s12, s2, v[5:6]
	v_ashrrev_i32_e32 v10, 31, v9
	v_ashrrev_i32_e32 v14, 31, v13
	v_mad_u64_u32 v[17:18], null, s24, s3, v[2:3]
	v_mad_u64_u32 v[19:20], null, s25, s3, v[2:3]
	v_lshlrev_b64 v[9:10], 2, v[9:10]
	v_lshlrev_b64 v[13:14], 2, v[13:14]
	v_lshlrev_b64 v[15:16], 1, v[15:16]
	v_mov_b32_e32 v12, v1
	v_ashrrev_i32_e32 v18, 31, v17
	s_mov_b32 s12, s17
	v_add_co_u32 v9, vcc_lo, s10, v9
	v_add_co_ci_u32_e64 v10, null, s11, v10, vcc_lo
	v_add_co_u32 v13, vcc_lo, s10, v13
	v_ashrrev_i32_e32 v20, 31, v19
	v_add_co_ci_u32_e64 v14, null, s11, v14, vcc_lo
	v_add_co_u32 v15, vcc_lo, s8, v15
	v_lshlrev_b64 v[17:18], 2, v[17:18]
	v_add_co_ci_u32_e64 v16, null, s9, v16, vcc_lo
	v_add_co_u32 v6, vcc_lo, s0, v6
	s_clause 0x1
	global_load_dword v4, v[9:10], off
	global_load_dword v21, v[13:14], off
	v_lshlrev_b64 v[13:14], 2, v[19:20]
	v_add_co_ci_u32_e64 v7, null, s1, v7, vcc_lo
	v_add_co_u32 v9, vcc_lo, s10, v17
	v_add_co_ci_u32_e64 v10, null, s11, v18, vcc_lo
	v_mad_u64_u32 v[17:18], null, s25, s2, v[5:6]
	global_load_dword v19, v[6:7], off
	v_add_co_u32 v6, vcc_lo, s10, v13
	v_mov_b32_e32 v18, v1
	v_add_co_ci_u32_e64 v7, null, s11, v14, vcc_lo
	global_load_dword v20, v[9:10], off
	v_lshlrev_b64 v[11:12], 1, v[11:12]
	v_lshlrev_b64 v[9:10], 1, v[17:18]
	global_load_dword v17, v[6:7], off
	v_mad_u64_u32 v[13:14], null, s24, s2, v[5:6]
	v_mov_b32_e32 v14, v1
	v_add_co_u32 v6, vcc_lo, s8, v11
	v_add_co_ci_u32_e64 v7, null, s9, v12, vcc_lo
	v_add_co_u32 v9, vcc_lo, s8, v9
	v_lshlrev_b64 v[11:12], 1, v[13:14]
	v_add_co_ci_u32_e64 v10, null, s9, v10, vcc_lo
	global_load_ushort v15, v[15:16], off
	s_mov_b32 s13, s15
	v_add_co_u32 v11, vcc_lo, s8, v11
	v_add_co_ci_u32_e64 v12, null, s9, v12, vcc_lo
	s_clause 0x2
	global_load_ushort v9, v[9:10], off
	global_load_ushort v6, v[6:7], off
	global_load_ushort v7, v[11:12], off
	s_waitcnt vmcnt(8)
	v_bfe_u32 v4, v4, v0, 8
	s_waitcnt vmcnt(7)
	v_bfe_u32 v14, v21, v0, 8
	v_sub_nc_u32_e32 v4, s19, v4
	v_sub_nc_u32_e32 v14, s19, v14
	v_cvt_f32_i32_e32 v4, v4
	s_waitcnt vmcnt(6)
	v_cvt_f32_ubyte0_e32 v10, v19
	v_cvt_f32_ubyte1_e32 v11, v19
	v_cvt_f32_ubyte2_e32 v12, v19
	v_cvt_f32_ubyte3_e32 v13, v19
	v_cvt_f16_f32_e32 v4, v4
	v_cvt_f16_f32_e32 v10, v10
	s_waitcnt vmcnt(5)
	v_bfe_u32 v16, v20, v0, 8
	v_cvt_f16_f32_e32 v11, v11
	v_cvt_f16_f32_e32 v12, v12
	s_waitcnt vmcnt(4)
	v_bfe_u32 v17, v17, v0, 8
	v_cvt_f16_f32_e32 v13, v13
	v_sub_nc_u32_e32 v16, s19, v16
	v_pack_b32_f16 v10, v10, v11
	v_cvt_f32_i32_e32 v11, v14
	v_sub_nc_u32_e32 v17, s19, v17
	v_pack_b32_f16 v12, v12, v13
	v_cvt_f32_i32_e32 v14, v16
	v_cvt_f16_f32_e32 v11, v11
	v_cvt_f32_i32_e32 v16, v17
	v_cvt_f16_f32_e32 v14, v14
	s_waitcnt vmcnt(3)
	v_lshlrev_b32_e32 v17, 16, v15
	v_mul_f16_e32 v11, v15, v11
	v_cvt_f16_f32_e32 v16, v16
	s_waitcnt vmcnt(2)
	v_lshlrev_b32_e32 v18, 16, v9
	s_waitcnt vmcnt(1)
	v_mul_f16_e32 v4, v6, v4
	s_waitcnt vmcnt(0)
	v_mul_f16_e32 v14, v7, v14
	v_mul_f16_e32 v9, v9, v16
	v_or_b32_sdwa v6, v17, v6 dst_sel:DWORD dst_unused:UNUSED_PAD src0_sel:DWORD src1_sel:WORD_0
	v_or_b32_sdwa v7, v18, v7 dst_sel:DWORD dst_unused:UNUSED_PAD src0_sel:DWORD src1_sel:WORD_0
	v_pack_b32_f16 v4, v4, v11
	v_pack_b32_f16 v9, v14, v9
	v_pk_fma_f16 v4, v12, v6, v4
	v_pk_fma_f16 v6, v10, v7, v9
	v_mov_b32_e32 v7, v8
	.p2align	6
.LBB5_9:                                ;   Parent Loop BB5_7 Depth=1
                                        ; =>  This Inner Loop Header: Depth=2
	v_mov_b32_e32 v9, s12
	s_add_i32 s13, s13, -1
	s_addk_i32 s12, 0x100
	s_cmp_eq_u32 s13, 0
	ds_read_b64 v[9:10], v9
	ds_read_u16 v11, v7
	s_waitcnt lgkmcnt(1)
	v_pk_fma_f16 v9, v6, v9, 0
	v_pk_fma_f16 v9, v4, v10, v9
	v_cvt_u16_f16_e32 v10, v9
	v_cvt_u16_f16_sdwa v9, v9 dst_sel:DWORD dst_unused:UNUSED_PAD src0_sel:WORD_1
	v_add_f16_e32 v9, v10, v9
	s_waitcnt lgkmcnt(0)
	v_add_f16_e32 v9, v11, v9
	ds_write_b16 v7, v9
	v_add_nc_u32_e32 v7, 2, v7
	s_cbranch_scc0 .LBB5_9
	s_branch .LBB5_6
.LBB5_10:
	s_cmp_lt_i32 s15, 1
	s_cbranch_scc1 .LBB5_19
; %bb.11:
	s_waitcnt lgkmcnt(0)
	s_load_dwordx2 s[4:5], s[6:7], 0x10
	v_mov_b32_e32 v1, 0
	s_mov_b32 s3, 0
	s_branch .LBB5_13
.LBB5_12:                               ;   in Loop: Header=BB5_13 Depth=1
	s_inst_prefetch 0x2
	s_or_b32 exec_lo, exec_lo, s6
	s_add_i32 s3, s3, 1
	s_cmp_eq_u32 s3, s15
	s_cbranch_scc1 .LBB5_19
.LBB5_13:                               ; =>This Loop Header: Depth=1
                                        ;     Child Loop BB5_15 Depth 2
	s_add_i32 s0, s3, s14
	s_mov_b32 s6, 0
	v_mad_u64_u32 v[2:3], null, s0, s2, v[5:6]
	v_mov_b32_e32 v3, v1
	v_lshlrev_b64 v[2:3], 1, v[2:3]
	s_waitcnt lgkmcnt(0)
	v_add_co_u32 v2, vcc_lo, s4, v2
	v_add_co_ci_u32_e64 v3, null, s5, v3, vcc_lo
	v_and_b32_e32 v0, 2, v2
	v_sub_co_u32 v4, s0, 0, v0
	v_sub_co_ci_u32_e64 v6, null, 0, 0, s0
	v_cmp_ne_u32_e64 s0, 0, v0
	v_add_co_u32 v2, vcc_lo, v2, v4
	v_add_co_ci_u32_e64 v3, null, v3, v6, vcc_lo
	v_lshl_add_u32 v4, s3, 1, v8
	v_cmp_eq_u64_e32 vcc_lo, 0, v[0:1]
	global_load_dword v7, v[2:3], off
	ds_read_u16 v4, v4
	s_inst_prefetch 0x1
	s_branch .LBB5_15
	.p2align	6
.LBB5_14:                               ;   in Loop: Header=BB5_15 Depth=2
	s_or_b32 exec_lo, exec_lo, s1
	global_atomic_cmpswap v0, v[2:3], v[6:7], off glc
	s_waitcnt vmcnt(0)
	v_cmp_eq_u32_e64 s1, v7, v0
	v_mov_b32_e32 v7, v0
	s_or_b32 s6, s1, s6
	s_andn2_b32 exec_lo, exec_lo, s6
	s_cbranch_execz .LBB5_12
.LBB5_15:                               ;   Parent Loop BB5_13 Depth=1
                                        ; =>  This Inner Loop Header: Depth=2
	s_waitcnt vmcnt(0)
	v_cndmask_b32_sdwa v0, v7, v7, vcc_lo dst_sel:DWORD dst_unused:UNUSED_PAD src0_sel:WORD_1 src1_sel:DWORD
	s_waitcnt lgkmcnt(0)
	v_add_f16_e32 v0, v4, v0
	v_and_b32_e32 v0, 0xffff, v0
	s_and_saveexec_b32 s1, s0
	s_xor_b32 s1, exec_lo, s1
; %bb.16:                               ;   in Loop: Header=BB5_15 Depth=2
	v_and_b32_e32 v6, 0xffff, v7
	v_lshl_or_b32 v6, v0, 16, v6
                                        ; implicit-def: $vgpr0
; %bb.17:                               ;   in Loop: Header=BB5_15 Depth=2
	s_andn2_saveexec_b32 s1, s1
	s_cbranch_execz .LBB5_14
; %bb.18:                               ;   in Loop: Header=BB5_15 Depth=2
	v_and_or_b32 v6, 0xffff0000, v7, v0
	s_branch .LBB5_14
.LBB5_19:
	s_endpgm
	.section	.rodata,"a",@progbits
	.p2align	6, 0x0
	.amdhsa_kernel _ZN4vllm4gptq32gemm_half_q_half_alt_8bit_kernelEPK7__half2PKjP6__halfPKS6_S5_PKiiiib
		.amdhsa_group_segment_fixed_size 18432
		.amdhsa_private_segment_fixed_size 0
		.amdhsa_kernarg_size 64
		.amdhsa_user_sgpr_count 8
		.amdhsa_user_sgpr_private_segment_buffer 1
		.amdhsa_user_sgpr_dispatch_ptr 1
		.amdhsa_user_sgpr_queue_ptr 0
		.amdhsa_user_sgpr_kernarg_segment_ptr 1
		.amdhsa_user_sgpr_dispatch_id 0
		.amdhsa_user_sgpr_flat_scratch_init 0
		.amdhsa_user_sgpr_private_segment_size 0
		.amdhsa_wavefront_size32 1
		.amdhsa_uses_dynamic_stack 0
		.amdhsa_system_sgpr_private_segment_wavefront_offset 0
		.amdhsa_system_sgpr_workgroup_id_x 1
		.amdhsa_system_sgpr_workgroup_id_y 1
		.amdhsa_system_sgpr_workgroup_id_z 1
		.amdhsa_system_sgpr_workgroup_info 0
		.amdhsa_system_vgpr_workitem_id 2
		.amdhsa_next_free_vgpr 22
		.amdhsa_next_free_sgpr 26
		.amdhsa_reserve_vcc 1
		.amdhsa_reserve_flat_scratch 0
		.amdhsa_float_round_mode_32 0
		.amdhsa_float_round_mode_16_64 0
		.amdhsa_float_denorm_mode_32 3
		.amdhsa_float_denorm_mode_16_64 3
		.amdhsa_dx10_clamp 1
		.amdhsa_ieee_mode 1
		.amdhsa_fp16_overflow 0
		.amdhsa_workgroup_processor_mode 1
		.amdhsa_memory_ordered 1
		.amdhsa_forward_progress 1
		.amdhsa_shared_vgpr_count 0
		.amdhsa_exception_fp_ieee_invalid_op 0
		.amdhsa_exception_fp_denorm_src 0
		.amdhsa_exception_fp_ieee_div_zero 0
		.amdhsa_exception_fp_ieee_overflow 0
		.amdhsa_exception_fp_ieee_underflow 0
		.amdhsa_exception_fp_ieee_inexact 0
		.amdhsa_exception_int_div_zero 0
	.end_amdhsa_kernel
	.text
.Lfunc_end5:
	.size	_ZN4vllm4gptq32gemm_half_q_half_alt_8bit_kernelEPK7__half2PKjP6__halfPKS6_S5_PKiiiib, .Lfunc_end5-_ZN4vllm4gptq32gemm_half_q_half_alt_8bit_kernelEPK7__half2PKjP6__halfPKS6_S5_PKiiiib
                                        ; -- End function
	.set _ZN4vllm4gptq32gemm_half_q_half_alt_8bit_kernelEPK7__half2PKjP6__halfPKS6_S5_PKiiiib.num_vgpr, 22
	.set _ZN4vllm4gptq32gemm_half_q_half_alt_8bit_kernelEPK7__half2PKjP6__halfPKS6_S5_PKiiiib.num_agpr, 0
	.set _ZN4vllm4gptq32gemm_half_q_half_alt_8bit_kernelEPK7__half2PKjP6__halfPKS6_S5_PKiiiib.numbered_sgpr, 26
	.set _ZN4vllm4gptq32gemm_half_q_half_alt_8bit_kernelEPK7__half2PKjP6__halfPKS6_S5_PKiiiib.num_named_barrier, 0
	.set _ZN4vllm4gptq32gemm_half_q_half_alt_8bit_kernelEPK7__half2PKjP6__halfPKS6_S5_PKiiiib.private_seg_size, 0
	.set _ZN4vllm4gptq32gemm_half_q_half_alt_8bit_kernelEPK7__half2PKjP6__halfPKS6_S5_PKiiiib.uses_vcc, 1
	.set _ZN4vllm4gptq32gemm_half_q_half_alt_8bit_kernelEPK7__half2PKjP6__halfPKS6_S5_PKiiiib.uses_flat_scratch, 0
	.set _ZN4vllm4gptq32gemm_half_q_half_alt_8bit_kernelEPK7__half2PKjP6__halfPKS6_S5_PKiiiib.has_dyn_sized_stack, 0
	.set _ZN4vllm4gptq32gemm_half_q_half_alt_8bit_kernelEPK7__half2PKjP6__halfPKS6_S5_PKiiiib.has_recursion, 0
	.set _ZN4vllm4gptq32gemm_half_q_half_alt_8bit_kernelEPK7__half2PKjP6__halfPKS6_S5_PKiiiib.has_indirect_call, 0
	.section	.AMDGPU.csdata,"",@progbits
; Kernel info:
; codeLenInByte = 1656
; TotalNumSgprs: 28
; NumVgprs: 22
; ScratchSize: 0
; MemoryBound: 0
; FloatMode: 240
; IeeeMode: 1
; LDSByteSize: 18432 bytes/workgroup (compile time only)
; SGPRBlocks: 0
; VGPRBlocks: 2
; NumSGPRsForWavesPerEU: 28
; NumVGPRsForWavesPerEU: 22
; Occupancy: 16
; WaveLimiterHint : 1
; COMPUTE_PGM_RSRC2:SCRATCH_EN: 0
; COMPUTE_PGM_RSRC2:USER_SGPR: 8
; COMPUTE_PGM_RSRC2:TRAP_HANDLER: 0
; COMPUTE_PGM_RSRC2:TGID_X_EN: 1
; COMPUTE_PGM_RSRC2:TGID_Y_EN: 1
; COMPUTE_PGM_RSRC2:TGID_Z_EN: 1
; COMPUTE_PGM_RSRC2:TIDIG_COMP_CNT: 2
	.text
	.protected	_ZN4vllm4gptq28reconstruct_gptq_3bit_kernelEPKjPK6__halfS2_PKiiiibPS3_ ; -- Begin function _ZN4vllm4gptq28reconstruct_gptq_3bit_kernelEPKjPK6__halfS2_PKiiiibPS3_
	.globl	_ZN4vllm4gptq28reconstruct_gptq_3bit_kernelEPKjPK6__halfS2_PKiiiibPS3_
	.p2align	8
	.type	_ZN4vllm4gptq28reconstruct_gptq_3bit_kernelEPKjPK6__halfS2_PKiiiibPS3_,@function
_ZN4vllm4gptq28reconstruct_gptq_3bit_kernelEPKjPK6__halfS2_PKiiiibPS3_: ; @_ZN4vllm4gptq28reconstruct_gptq_3bit_kernelEPKjPK6__halfS2_PKiiiibPS3_
; %bb.0:
	s_load_dword s2, s[4:5], 0x24
	v_lshl_add_u32 v1, s6, 7, v0
	s_mov_b32 s0, exec_lo
	s_waitcnt lgkmcnt(0)
	v_cmpx_gt_u32_e64 s2, v1
	s_cbranch_execz .LBB6_175
; %bb.1:
	s_clause 0x1
	s_load_dwordx8 s[8:15], s[4:5], 0x0
	s_load_dwordx2 s[16:17], s[4:5], 0x30
	s_lshl_b32 s18, s7, 5
	s_mov_b32 s19, 0
	s_mul_i32 s6, s2, 3
	s_lshl_b64 s[0:1], s[18:19], 2
	v_mad_u64_u32 v[2:3], null, s6, s7, v[1:2]
	v_lshl_add_u32 v8, v1, 1, v1
	v_mov_b32_e32 v3, 0
	s_mov_b32 s3, 0
	s_mov_b32 s7, exec_lo
	v_ashrrev_i32_e32 v6, 31, v8
	v_lshlrev_b64 v[4:5], 2, v[2:3]
	v_add_nc_u32_e32 v2, s2, v2
	v_lshrrev_b32_e32 v9, 27, v6
	v_lshlrev_b64 v[6:7], 2, v[2:3]
	s_waitcnt lgkmcnt(0)
	s_add_u32 s14, s14, s0
	s_addc_u32 s15, s15, s1
	v_add_nc_u32_e32 v2, s2, v2
	s_load_dword s0, s[14:15], 0x0
	v_add_nc_u32_e32 v10, v8, v9
	v_add_co_u32 v4, vcc_lo, s8, v4
	v_add_co_ci_u32_e64 v5, null, s9, v5, vcc_lo
	v_ashrrev_i32_e32 v11, 5, v10
	v_add_co_u32 v6, vcc_lo, s8, v6
	v_add_co_ci_u32_e64 v7, null, s9, v7, vcc_lo
	v_and_b32_e32 v10, 31, v0
                                        ; implicit-def: $vgpr0
	s_waitcnt lgkmcnt(0)
	s_mul_i32 s1, s6, s0
	v_mad_u64_u32 v[8:9], null, s0, s2, v[1:2]
	s_ashr_i32 s0, s1, 31
	v_lshlrev_b64 v[2:3], 2, v[2:3]
	s_lshr_b32 s0, s0, 27
	s_add_i32 s1, s1, s0
	s_ashr_i32 s0, s1, 5
	v_ashrrev_i32_e32 v9, 31, v8
	v_add_nc_u32_e32 v12, s0, v11
	v_add_co_u32 v14, vcc_lo, s8, v2
	v_add_co_ci_u32_e64 v15, null, s9, v3, vcc_lo
	v_ashrrev_i32_e32 v13, 31, v12
	v_lshlrev_b64 v[8:9], 1, v[8:9]
	v_cmp_lt_u32_e64 s0, 9, v10
	v_lshlrev_b64 v[2:3], 2, v[12:13]
	v_add_co_u32 v8, vcc_lo, s10, v8
	v_add_co_ci_u32_e64 v9, null, s11, v9, vcc_lo
	v_add_co_u32 v2, vcc_lo, s12, v2
	v_add_co_ci_u32_e64 v3, null, s13, v3, vcc_lo
	s_clause 0x2
	global_load_dword v13, v[4:5], off
	global_load_dword v12, v[6:7], off
	global_load_dword v6, v[14:15], off
	global_load_ushort v4, v[8:9], off
	global_load_dword v5, v[2:3], off
	v_cmp_lt_u32_e32 vcc_lo, 20, v10
	v_cmpx_lt_i32_e32 20, v10
	s_xor_b32 s7, exec_lo, s7
	s_cbranch_execz .LBB6_5
; %bb.2:
	s_mov_b32 s3, -1
	s_mov_b32 s8, exec_lo
                                        ; implicit-def: $vgpr0
	v_cmpx_eq_u32_e32 21, v10
	s_cbranch_execz .LBB6_4
; %bb.3:
	global_load_dword v0, v[2:3], off offset:4
	s_xor_b32 s3, exec_lo, -1
	s_waitcnt vmcnt(0)
	v_alignbit_b32 v0, v0, v5, 31
	v_and_b32_e32 v0, 7, v0
.LBB6_4:
	s_or_b32 exec_lo, exec_lo, s8
	s_and_b32 s3, s3, exec_lo
.LBB6_5:
	s_andn2_saveexec_b32 s7, s7
; %bb.6:
	v_cmp_ne_u32_e64 s1, 10, v10
	s_andn2_b32 s3, s3, exec_lo
	s_mov_b32 s19, exec_lo
	s_and_b32 s1, s1, exec_lo
	s_or_b32 s3, s3, s1
; %bb.7:
	s_or_b32 exec_lo, exec_lo, s7
	v_mul_u32_u24_e32 v8, 3, v10
	v_mad_u32_u24 v9, v10, 3, 0xffffffc0
	v_mad_u32_u24 v7, v10, 3, 0xffffffe0
	s_and_saveexec_b32 s1, s3
	s_xor_b32 s1, exec_lo, s1
	s_cbranch_execz .LBB6_17
; %bb.8:
                                        ; implicit-def: $vgpr0
	s_and_saveexec_b32 s3, s0
	s_xor_b32 s3, exec_lo, s3
	s_cbranch_execz .LBB6_14
; %bb.9:
                                        ; implicit-def: $vgpr0
	s_and_saveexec_b32 s7, vcc_lo
	s_xor_b32 s7, exec_lo, s7
	s_cbranch_execz .LBB6_11
; %bb.10:
	s_waitcnt vmcnt(0)
	v_bfe_u32 v0, v5, v9, 3
.LBB6_11:
	s_andn2_saveexec_b32 s7, s7
	s_cbranch_execz .LBB6_13
; %bb.12:
	s_waitcnt vmcnt(0)
	v_bfe_u32 v0, v5, v7, 3
.LBB6_13:
	s_or_b32 exec_lo, exec_lo, s7
.LBB6_14:
	s_andn2_saveexec_b32 s3, s3
	s_cbranch_execz .LBB6_16
; %bb.15:
	s_waitcnt vmcnt(0)
	v_bfe_u32 v0, v5, v8, 3
.LBB6_16:
	s_or_b32 exec_lo, exec_lo, s3
	s_andn2_b32 s19, s19, exec_lo
.LBB6_17:
	s_or_b32 exec_lo, exec_lo, s1
	s_and_saveexec_b32 s1, s19
	s_cbranch_execz .LBB6_19
; %bb.18:
	global_load_dword v0, v[2:3], off offset:4
	s_waitcnt vmcnt(0)
	v_alignbit_b32 v0, v0, v5, 30
	v_and_b32_e32 v0, 7, v0
.LBB6_19:
	s_or_b32 exec_lo, exec_lo, s1
	s_load_dword s1, s[4:5], 0x2c
	v_mad_u64_u32 v[2:3], null, s2, s18, v[1:2]
	s_waitcnt vmcnt(4)
	v_and_b32_e32 v3, 7, v13
	s_mov_b32 s5, exec_lo
	s_waitcnt lgkmcnt(0)
	s_and_b32 s7, s1, 1
	s_add_i32 s7, s7, -1
	v_sub_nc_u32_e32 v0, s7, v0
	v_add_nc_u32_e32 v0, v0, v3
	v_ashrrev_i32_e32 v3, 31, v2
	v_cvt_f32_i32_e32 v0, v0
	v_lshlrev_b64 v[2:3], 1, v[2:3]
	v_cvt_f16_f32_e32 v0, v0
	v_add_co_u32 v2, s1, s16, v2
	v_add_co_ci_u32_e64 v3, null, s17, v3, s1
	s_load_dword s1, s[14:15], 0x4
	s_waitcnt vmcnt(1)
	v_mul_f16_e32 v0, v4, v0
	global_store_short v[2:3], v0, off
	s_waitcnt lgkmcnt(0)
	s_mul_i32 s3, s6, s1
	s_waitcnt vmcnt(0)
	v_mad_u64_u32 v[4:5], null, s1, s2, v[1:2]
	s_ashr_i32 s4, s3, 31
	s_lshr_b32 s1, s4, 27
	s_mov_b32 s4, 0
	s_add_i32 s3, s3, s1
	s_ashr_i32 s1, s3, 5
	v_ashrrev_i32_e32 v5, 31, v4
	v_add_nc_u32_e32 v14, s1, v11
	s_mov_b32 s3, 0
	v_lshlrev_b64 v[4:5], 1, v[4:5]
	v_ashrrev_i32_e32 v15, 31, v14
	v_lshlrev_b64 v[14:15], 2, v[14:15]
	v_add_co_u32 v16, s1, s10, v4
	v_add_co_ci_u32_e64 v17, null, s11, v5, s1
	v_add_co_u32 v4, s1, s12, v14
	v_add_co_ci_u32_e64 v5, null, s13, v15, s1
	global_load_ushort v0, v[16:17], off
	global_load_dword v14, v[4:5], off
                                        ; implicit-def: $vgpr15
	v_cmpx_lt_i32_e32 20, v10
	s_xor_b32 s5, exec_lo, s5
	s_cbranch_execnz .LBB6_176
; %bb.20:
	s_andn2_saveexec_b32 s5, s5
	s_cbranch_execnz .LBB6_179
.LBB6_21:
	s_or_b32 exec_lo, exec_lo, s5
	s_and_saveexec_b32 s1, s4
	s_xor_b32 s1, exec_lo, s1
	s_cbranch_execnz .LBB6_180
.LBB6_22:
	s_or_b32 exec_lo, exec_lo, s1
	s_and_saveexec_b32 s1, s3
	s_cbranch_execz .LBB6_24
.LBB6_23:
	global_load_dword v4, v[4:5], off offset:4
	s_waitcnt vmcnt(0)
	v_alignbit_b32 v4, v4, v14, 30
	v_and_b32_e32 v15, 7, v4
.LBB6_24:
	s_or_b32 exec_lo, exec_lo, s1
	s_ashr_i32 s3, s2, 31
	v_bfe_u32 v4, v13, 3, 3
	s_lshl_b64 s[4:5], s[2:3], 1
	v_sub_nc_u32_e32 v5, s7, v15
	v_add_co_u32 v2, s1, v2, s4
	v_add_co_ci_u32_e64 v3, null, s5, v3, s1
	s_load_dword s1, s[14:15], 0x8
	v_add_nc_u32_e32 v4, v5, v4
	s_mov_b32 s9, exec_lo
	v_cvt_f32_i32_e32 v4, v4
	v_cvt_f16_f32_e32 v4, v4
	s_waitcnt vmcnt(1)
	v_mul_f16_e32 v0, v0, v4
	s_waitcnt lgkmcnt(0)
	s_mul_i32 s3, s6, s1
	v_mad_u64_u32 v[4:5], null, s1, s2, v[1:2]
	s_ashr_i32 s8, s3, 31
	global_store_short v[2:3], v0, off
	s_lshr_b32 s1, s8, 27
	s_mov_b32 s8, 0
	s_add_i32 s3, s3, s1
	s_ashr_i32 s1, s3, 5
	v_ashrrev_i32_e32 v5, 31, v4
	s_waitcnt vmcnt(0)
	v_add_nc_u32_e32 v14, s1, v11
	s_mov_b32 s3, 0
	v_lshlrev_b64 v[4:5], 1, v[4:5]
	v_ashrrev_i32_e32 v15, 31, v14
	v_add_co_u32 v16, s1, s10, v4
	v_lshlrev_b64 v[14:15], 2, v[14:15]
	v_add_co_ci_u32_e64 v17, null, s11, v5, s1
	v_add_co_u32 v4, s1, s12, v14
	v_add_co_ci_u32_e64 v5, null, s13, v15, s1
	global_load_ushort v0, v[16:17], off
	global_load_dword v14, v[4:5], off
                                        ; implicit-def: $vgpr15
	v_cmpx_lt_i32_e32 20, v10
	s_xor_b32 s9, exec_lo, s9
	s_cbranch_execnz .LBB6_189
; %bb.25:
	s_andn2_saveexec_b32 s9, s9
	s_cbranch_execnz .LBB6_192
.LBB6_26:
	s_or_b32 exec_lo, exec_lo, s9
	s_and_saveexec_b32 s1, s8
	s_xor_b32 s1, exec_lo, s1
	s_cbranch_execnz .LBB6_193
.LBB6_27:
	s_or_b32 exec_lo, exec_lo, s1
	s_and_saveexec_b32 s1, s3
	s_cbranch_execz .LBB6_29
.LBB6_28:
	global_load_dword v4, v[4:5], off offset:4
	s_waitcnt vmcnt(0)
	v_alignbit_b32 v4, v4, v14, 30
	v_and_b32_e32 v15, 7, v4
.LBB6_29:
	s_or_b32 exec_lo, exec_lo, s1
	v_add_co_u32 v2, s1, v2, s4
	v_add_co_ci_u32_e64 v3, null, s5, v3, s1
	s_load_dword s1, s[14:15], 0xc
	v_bfe_u32 v4, v13, 6, 3
	v_sub_nc_u32_e32 v5, s7, v15
	s_mov_b32 s9, exec_lo
	v_add_nc_u32_e32 v4, v5, v4
	v_cvt_f32_i32_e32 v4, v4
	v_cvt_f16_f32_e32 v4, v4
	s_waitcnt lgkmcnt(0)
	s_mul_i32 s3, s6, s1
	s_ashr_i32 s8, s3, 31
	s_waitcnt vmcnt(1)
	v_mul_f16_e32 v0, v0, v4
	v_mad_u64_u32 v[4:5], null, s1, s2, v[1:2]
	s_lshr_b32 s1, s8, 27
	s_mov_b32 s8, 0
	s_add_i32 s3, s3, s1
	global_store_short v[2:3], v0, off
	s_ashr_i32 s1, s3, 5
	s_mov_b32 s3, 0
	s_waitcnt vmcnt(0)
	v_add_nc_u32_e32 v14, s1, v11
	v_ashrrev_i32_e32 v5, 31, v4
	v_ashrrev_i32_e32 v15, 31, v14
	v_lshlrev_b64 v[4:5], 1, v[4:5]
	v_lshlrev_b64 v[14:15], 2, v[14:15]
	v_add_co_u32 v16, s1, s10, v4
	v_add_co_ci_u32_e64 v17, null, s11, v5, s1
	v_add_co_u32 v4, s1, s12, v14
	v_add_co_ci_u32_e64 v5, null, s13, v15, s1
	global_load_ushort v0, v[16:17], off
	global_load_dword v14, v[4:5], off
                                        ; implicit-def: $vgpr15
	v_cmpx_lt_i32_e32 20, v10
	s_xor_b32 s9, exec_lo, s9
	s_cbranch_execnz .LBB6_202
; %bb.30:
	s_andn2_saveexec_b32 s9, s9
	s_cbranch_execnz .LBB6_205
.LBB6_31:
	s_or_b32 exec_lo, exec_lo, s9
	s_and_saveexec_b32 s1, s8
	s_xor_b32 s1, exec_lo, s1
	s_cbranch_execnz .LBB6_206
.LBB6_32:
	s_or_b32 exec_lo, exec_lo, s1
	s_and_saveexec_b32 s1, s3
	s_cbranch_execz .LBB6_34
.LBB6_33:
	global_load_dword v4, v[4:5], off offset:4
	s_waitcnt vmcnt(0)
	v_alignbit_b32 v4, v4, v14, 30
	v_and_b32_e32 v15, 7, v4
.LBB6_34:
	s_or_b32 exec_lo, exec_lo, s1
	v_add_co_u32 v2, s1, v2, s4
	v_add_co_ci_u32_e64 v3, null, s5, v3, s1
	s_load_dword s1, s[14:15], 0x10
	v_bfe_u32 v4, v13, 9, 3
	v_sub_nc_u32_e32 v5, s7, v15
	s_mov_b32 s9, exec_lo
	v_add_nc_u32_e32 v4, v5, v4
	v_cvt_f32_i32_e32 v4, v4
	v_cvt_f16_f32_e32 v4, v4
	s_waitcnt lgkmcnt(0)
	s_mul_i32 s3, s6, s1
	s_ashr_i32 s8, s3, 31
	s_waitcnt vmcnt(1)
	v_mul_f16_e32 v0, v0, v4
	v_mad_u64_u32 v[4:5], null, s1, s2, v[1:2]
	s_lshr_b32 s1, s8, 27
	s_mov_b32 s8, 0
	s_add_i32 s3, s3, s1
	global_store_short v[2:3], v0, off
	s_ashr_i32 s1, s3, 5
	s_mov_b32 s3, 0
	s_waitcnt vmcnt(0)
	v_add_nc_u32_e32 v14, s1, v11
	v_ashrrev_i32_e32 v5, 31, v4
	v_ashrrev_i32_e32 v15, 31, v14
	v_lshlrev_b64 v[4:5], 1, v[4:5]
	v_lshlrev_b64 v[14:15], 2, v[14:15]
	v_add_co_u32 v16, s1, s10, v4
	v_add_co_ci_u32_e64 v17, null, s11, v5, s1
	v_add_co_u32 v4, s1, s12, v14
	v_add_co_ci_u32_e64 v5, null, s13, v15, s1
	global_load_ushort v0, v[16:17], off
	global_load_dword v14, v[4:5], off
                                        ; implicit-def: $vgpr15
	v_cmpx_lt_i32_e32 20, v10
	s_xor_b32 s9, exec_lo, s9
	s_cbranch_execnz .LBB6_215
; %bb.35:
	s_andn2_saveexec_b32 s9, s9
	s_cbranch_execnz .LBB6_218
.LBB6_36:
	s_or_b32 exec_lo, exec_lo, s9
	s_and_saveexec_b32 s1, s8
	s_xor_b32 s1, exec_lo, s1
	s_cbranch_execnz .LBB6_219
.LBB6_37:
	s_or_b32 exec_lo, exec_lo, s1
	s_and_saveexec_b32 s1, s3
	s_cbranch_execz .LBB6_39
.LBB6_38:
	global_load_dword v4, v[4:5], off offset:4
	s_waitcnt vmcnt(0)
	v_alignbit_b32 v4, v4, v14, 30
	v_and_b32_e32 v15, 7, v4
.LBB6_39:
	s_or_b32 exec_lo, exec_lo, s1
	v_add_co_u32 v2, s1, v2, s4
	v_add_co_ci_u32_e64 v3, null, s5, v3, s1
	s_load_dword s1, s[14:15], 0x14
	v_bfe_u32 v4, v13, 12, 3
	v_sub_nc_u32_e32 v5, s7, v15
	s_mov_b32 s9, exec_lo
	v_add_nc_u32_e32 v4, v5, v4
	v_cvt_f32_i32_e32 v4, v4
	v_cvt_f16_f32_e32 v4, v4
	s_waitcnt lgkmcnt(0)
	s_mul_i32 s3, s6, s1
	s_ashr_i32 s8, s3, 31
	s_waitcnt vmcnt(1)
	v_mul_f16_e32 v0, v0, v4
	v_mad_u64_u32 v[4:5], null, s1, s2, v[1:2]
	s_lshr_b32 s1, s8, 27
	s_mov_b32 s8, 0
	s_add_i32 s3, s3, s1
	global_store_short v[2:3], v0, off
	s_ashr_i32 s1, s3, 5
	s_mov_b32 s3, 0
	s_waitcnt vmcnt(0)
	v_add_nc_u32_e32 v14, s1, v11
	v_ashrrev_i32_e32 v5, 31, v4
	v_ashrrev_i32_e32 v15, 31, v14
	v_lshlrev_b64 v[4:5], 1, v[4:5]
	v_lshlrev_b64 v[14:15], 2, v[14:15]
	v_add_co_u32 v16, s1, s10, v4
	v_add_co_ci_u32_e64 v17, null, s11, v5, s1
	v_add_co_u32 v4, s1, s12, v14
	v_add_co_ci_u32_e64 v5, null, s13, v15, s1
	global_load_ushort v0, v[16:17], off
	global_load_dword v14, v[4:5], off
                                        ; implicit-def: $vgpr15
	v_cmpx_lt_i32_e32 20, v10
	s_xor_b32 s9, exec_lo, s9
	s_cbranch_execnz .LBB6_228
; %bb.40:
	s_andn2_saveexec_b32 s9, s9
	s_cbranch_execnz .LBB6_231
.LBB6_41:
	s_or_b32 exec_lo, exec_lo, s9
	s_and_saveexec_b32 s1, s8
	s_xor_b32 s1, exec_lo, s1
	s_cbranch_execnz .LBB6_232
.LBB6_42:
	s_or_b32 exec_lo, exec_lo, s1
	s_and_saveexec_b32 s1, s3
	s_cbranch_execz .LBB6_44
.LBB6_43:
	global_load_dword v4, v[4:5], off offset:4
	s_waitcnt vmcnt(0)
	v_alignbit_b32 v4, v4, v14, 30
	v_and_b32_e32 v15, 7, v4
.LBB6_44:
	s_or_b32 exec_lo, exec_lo, s1
	v_add_co_u32 v2, s1, v2, s4
	v_add_co_ci_u32_e64 v3, null, s5, v3, s1
	s_load_dword s1, s[14:15], 0x18
	v_bfe_u32 v4, v13, 15, 3
	v_sub_nc_u32_e32 v5, s7, v15
	s_mov_b32 s9, exec_lo
	v_add_nc_u32_e32 v4, v5, v4
	v_cvt_f32_i32_e32 v4, v4
	v_cvt_f16_f32_e32 v4, v4
	s_waitcnt lgkmcnt(0)
	s_mul_i32 s3, s6, s1
	s_ashr_i32 s8, s3, 31
	s_waitcnt vmcnt(1)
	v_mul_f16_e32 v0, v0, v4
	v_mad_u64_u32 v[4:5], null, s1, s2, v[1:2]
	s_lshr_b32 s1, s8, 27
	s_mov_b32 s8, 0
	s_add_i32 s3, s3, s1
	global_store_short v[2:3], v0, off
	s_ashr_i32 s1, s3, 5
	s_mov_b32 s3, 0
	s_waitcnt vmcnt(0)
	v_add_nc_u32_e32 v14, s1, v11
	v_ashrrev_i32_e32 v5, 31, v4
	v_ashrrev_i32_e32 v15, 31, v14
	v_lshlrev_b64 v[4:5], 1, v[4:5]
	v_lshlrev_b64 v[14:15], 2, v[14:15]
	v_add_co_u32 v16, s1, s10, v4
	v_add_co_ci_u32_e64 v17, null, s11, v5, s1
	v_add_co_u32 v4, s1, s12, v14
	v_add_co_ci_u32_e64 v5, null, s13, v15, s1
	global_load_ushort v0, v[16:17], off
	global_load_dword v14, v[4:5], off
                                        ; implicit-def: $vgpr15
	v_cmpx_lt_i32_e32 20, v10
	s_xor_b32 s9, exec_lo, s9
	s_cbranch_execnz .LBB6_241
; %bb.45:
	s_andn2_saveexec_b32 s9, s9
	s_cbranch_execnz .LBB6_244
.LBB6_46:
	s_or_b32 exec_lo, exec_lo, s9
	s_and_saveexec_b32 s1, s8
	s_xor_b32 s1, exec_lo, s1
	s_cbranch_execnz .LBB6_245
.LBB6_47:
	s_or_b32 exec_lo, exec_lo, s1
	s_and_saveexec_b32 s1, s3
	s_cbranch_execz .LBB6_49
.LBB6_48:
	global_load_dword v4, v[4:5], off offset:4
	s_waitcnt vmcnt(0)
	v_alignbit_b32 v4, v4, v14, 30
	v_and_b32_e32 v15, 7, v4
.LBB6_49:
	s_or_b32 exec_lo, exec_lo, s1
	v_add_co_u32 v2, s1, v2, s4
	v_add_co_ci_u32_e64 v3, null, s5, v3, s1
	s_load_dword s1, s[14:15], 0x1c
	v_bfe_u32 v4, v13, 18, 3
	v_sub_nc_u32_e32 v5, s7, v15
	s_mov_b32 s9, exec_lo
	v_add_nc_u32_e32 v4, v5, v4
	v_cvt_f32_i32_e32 v4, v4
	v_cvt_f16_f32_e32 v4, v4
	s_waitcnt lgkmcnt(0)
	s_mul_i32 s3, s6, s1
	s_ashr_i32 s8, s3, 31
	s_waitcnt vmcnt(1)
	v_mul_f16_e32 v0, v0, v4
	v_mad_u64_u32 v[4:5], null, s1, s2, v[1:2]
	s_lshr_b32 s1, s8, 27
	s_mov_b32 s8, 0
	s_add_i32 s3, s3, s1
	global_store_short v[2:3], v0, off
	s_ashr_i32 s1, s3, 5
	s_mov_b32 s3, 0
	s_waitcnt vmcnt(0)
	v_add_nc_u32_e32 v14, s1, v11
	v_ashrrev_i32_e32 v5, 31, v4
	v_ashrrev_i32_e32 v15, 31, v14
	v_lshlrev_b64 v[4:5], 1, v[4:5]
	v_lshlrev_b64 v[14:15], 2, v[14:15]
	v_add_co_u32 v16, s1, s10, v4
	v_add_co_ci_u32_e64 v17, null, s11, v5, s1
	v_add_co_u32 v4, s1, s12, v14
	v_add_co_ci_u32_e64 v5, null, s13, v15, s1
	global_load_ushort v0, v[16:17], off
	global_load_dword v14, v[4:5], off
                                        ; implicit-def: $vgpr15
	v_cmpx_lt_i32_e32 20, v10
	s_xor_b32 s9, exec_lo, s9
	s_cbranch_execnz .LBB6_254
; %bb.50:
	s_andn2_saveexec_b32 s9, s9
	s_cbranch_execnz .LBB6_257
.LBB6_51:
	s_or_b32 exec_lo, exec_lo, s9
	s_and_saveexec_b32 s1, s8
	s_xor_b32 s1, exec_lo, s1
	s_cbranch_execnz .LBB6_258
.LBB6_52:
	s_or_b32 exec_lo, exec_lo, s1
	s_and_saveexec_b32 s1, s3
	s_cbranch_execz .LBB6_54
.LBB6_53:
	global_load_dword v4, v[4:5], off offset:4
	s_waitcnt vmcnt(0)
	v_alignbit_b32 v4, v4, v14, 30
	v_and_b32_e32 v15, 7, v4
.LBB6_54:
	s_or_b32 exec_lo, exec_lo, s1
	v_add_co_u32 v2, s1, v2, s4
	v_add_co_ci_u32_e64 v3, null, s5, v3, s1
	s_load_dword s1, s[14:15], 0x20
	v_bfe_u32 v4, v13, 21, 3
	v_sub_nc_u32_e32 v5, s7, v15
	s_mov_b32 s9, exec_lo
	v_add_nc_u32_e32 v4, v5, v4
	v_cvt_f32_i32_e32 v4, v4
	v_cvt_f16_f32_e32 v4, v4
	s_waitcnt lgkmcnt(0)
	s_mul_i32 s3, s6, s1
	s_ashr_i32 s8, s3, 31
	s_waitcnt vmcnt(1)
	v_mul_f16_e32 v0, v0, v4
	v_mad_u64_u32 v[4:5], null, s1, s2, v[1:2]
	s_lshr_b32 s1, s8, 27
	s_mov_b32 s8, 0
	s_add_i32 s3, s3, s1
	global_store_short v[2:3], v0, off
	s_ashr_i32 s1, s3, 5
	s_mov_b32 s3, 0
	s_waitcnt vmcnt(0)
	v_add_nc_u32_e32 v14, s1, v11
	v_ashrrev_i32_e32 v5, 31, v4
	v_ashrrev_i32_e32 v15, 31, v14
	v_lshlrev_b64 v[4:5], 1, v[4:5]
	v_lshlrev_b64 v[14:15], 2, v[14:15]
	v_add_co_u32 v16, s1, s10, v4
	v_add_co_ci_u32_e64 v17, null, s11, v5, s1
	v_add_co_u32 v4, s1, s12, v14
	v_add_co_ci_u32_e64 v5, null, s13, v15, s1
	global_load_ushort v0, v[16:17], off
	global_load_dword v14, v[4:5], off
                                        ; implicit-def: $vgpr15
	v_cmpx_lt_i32_e32 20, v10
	s_xor_b32 s9, exec_lo, s9
	s_cbranch_execnz .LBB6_267
; %bb.55:
	s_andn2_saveexec_b32 s9, s9
	s_cbranch_execnz .LBB6_270
.LBB6_56:
	s_or_b32 exec_lo, exec_lo, s9
	s_and_saveexec_b32 s1, s8
	s_xor_b32 s1, exec_lo, s1
	s_cbranch_execnz .LBB6_271
.LBB6_57:
	s_or_b32 exec_lo, exec_lo, s1
	s_and_saveexec_b32 s1, s3
	s_cbranch_execz .LBB6_59
.LBB6_58:
	global_load_dword v4, v[4:5], off offset:4
	s_waitcnt vmcnt(0)
	v_alignbit_b32 v4, v4, v14, 30
	v_and_b32_e32 v15, 7, v4
.LBB6_59:
	s_or_b32 exec_lo, exec_lo, s1
	v_add_co_u32 v2, s1, v2, s4
	v_add_co_ci_u32_e64 v3, null, s5, v3, s1
	s_load_dword s1, s[14:15], 0x24
	v_bfe_u32 v4, v13, 24, 3
	v_sub_nc_u32_e32 v5, s7, v15
	s_mov_b32 s9, exec_lo
	v_add_nc_u32_e32 v4, v5, v4
	v_cvt_f32_i32_e32 v4, v4
	v_cvt_f16_f32_e32 v4, v4
	s_waitcnt lgkmcnt(0)
	s_mul_i32 s3, s6, s1
	s_ashr_i32 s8, s3, 31
	s_waitcnt vmcnt(1)
	v_mul_f16_e32 v0, v0, v4
	v_mad_u64_u32 v[4:5], null, s1, s2, v[1:2]
	s_lshr_b32 s1, s8, 27
	s_mov_b32 s8, 0
	s_add_i32 s3, s3, s1
	global_store_short v[2:3], v0, off
	s_ashr_i32 s1, s3, 5
	s_mov_b32 s3, 0
	s_waitcnt vmcnt(0)
	v_add_nc_u32_e32 v14, s1, v11
	v_ashrrev_i32_e32 v5, 31, v4
	v_ashrrev_i32_e32 v15, 31, v14
	v_lshlrev_b64 v[4:5], 1, v[4:5]
	v_lshlrev_b64 v[14:15], 2, v[14:15]
	v_add_co_u32 v16, s1, s10, v4
	v_add_co_ci_u32_e64 v17, null, s11, v5, s1
	v_add_co_u32 v4, s1, s12, v14
	v_add_co_ci_u32_e64 v5, null, s13, v15, s1
	global_load_ushort v0, v[16:17], off
	global_load_dword v14, v[4:5], off
                                        ; implicit-def: $vgpr15
	v_cmpx_lt_i32_e32 20, v10
	s_xor_b32 s9, exec_lo, s9
	s_cbranch_execnz .LBB6_280
; %bb.60:
	s_andn2_saveexec_b32 s9, s9
	s_cbranch_execnz .LBB6_283
.LBB6_61:
	s_or_b32 exec_lo, exec_lo, s9
	s_and_saveexec_b32 s1, s8
	s_xor_b32 s1, exec_lo, s1
	s_cbranch_execnz .LBB6_284
.LBB6_62:
	s_or_b32 exec_lo, exec_lo, s1
	s_and_saveexec_b32 s1, s3
	s_cbranch_execz .LBB6_64
.LBB6_63:
	global_load_dword v4, v[4:5], off offset:4
	s_waitcnt vmcnt(0)
	v_alignbit_b32 v4, v4, v14, 30
	v_and_b32_e32 v15, 7, v4
.LBB6_64:
	s_or_b32 exec_lo, exec_lo, s1
	v_add_co_u32 v2, s1, v2, s4
	v_add_co_ci_u32_e64 v3, null, s5, v3, s1
	s_load_dword s1, s[14:15], 0x28
	v_bfe_u32 v4, v13, 27, 3
	v_sub_nc_u32_e32 v5, s7, v15
	s_mov_b32 s9, exec_lo
	v_add_nc_u32_e32 v4, v5, v4
	v_cvt_f32_i32_e32 v4, v4
	v_cvt_f16_f32_e32 v4, v4
	s_waitcnt lgkmcnt(0)
	s_mul_i32 s3, s6, s1
	s_ashr_i32 s8, s3, 31
	s_waitcnt vmcnt(1)
	v_mul_f16_e32 v0, v0, v4
	v_mad_u64_u32 v[4:5], null, s1, s2, v[1:2]
	s_lshr_b32 s1, s8, 27
	s_mov_b32 s8, 0
	s_add_i32 s3, s3, s1
	global_store_short v[2:3], v0, off
	s_ashr_i32 s1, s3, 5
	s_mov_b32 s3, 0
	s_waitcnt vmcnt(0)
	v_add_nc_u32_e32 v14, s1, v11
	v_ashrrev_i32_e32 v5, 31, v4
	v_ashrrev_i32_e32 v15, 31, v14
	v_lshlrev_b64 v[4:5], 1, v[4:5]
	v_lshlrev_b64 v[14:15], 2, v[14:15]
	v_add_co_u32 v16, s1, s10, v4
	v_add_co_ci_u32_e64 v17, null, s11, v5, s1
	v_add_co_u32 v4, s1, s12, v14
	v_add_co_ci_u32_e64 v5, null, s13, v15, s1
	global_load_ushort v0, v[16:17], off
	global_load_dword v14, v[4:5], off
                                        ; implicit-def: $vgpr15
	v_cmpx_lt_i32_e32 20, v10
	s_xor_b32 s9, exec_lo, s9
	s_cbranch_execnz .LBB6_293
; %bb.65:
	s_andn2_saveexec_b32 s9, s9
	s_cbranch_execnz .LBB6_296
.LBB6_66:
	s_or_b32 exec_lo, exec_lo, s9
	s_and_saveexec_b32 s1, s8
	s_xor_b32 s1, exec_lo, s1
	s_cbranch_execnz .LBB6_297
.LBB6_67:
	s_or_b32 exec_lo, exec_lo, s1
	s_and_saveexec_b32 s1, s3
	s_cbranch_execz .LBB6_69
.LBB6_68:
	global_load_dword v4, v[4:5], off offset:4
	s_waitcnt vmcnt(0)
	v_alignbit_b32 v4, v4, v14, 30
	v_and_b32_e32 v15, 7, v4
.LBB6_69:
	s_or_b32 exec_lo, exec_lo, s1
	v_add_co_u32 v2, s1, v2, s4
	v_alignbit_b32 v4, v12, v13, 30
	v_add_co_ci_u32_e64 v3, null, s5, v3, s1
	s_load_dword s1, s[14:15], 0x2c
	v_sub_nc_u32_e32 v5, s7, v15
	v_and_b32_e32 v4, 7, v4
	s_mov_b32 s9, exec_lo
	v_add_nc_u32_e32 v4, v5, v4
	v_cvt_f32_i32_e32 v4, v4
	v_cvt_f16_f32_e32 v4, v4
	s_waitcnt lgkmcnt(0)
	s_mul_i32 s3, s6, s1
	s_ashr_i32 s8, s3, 31
	s_waitcnt vmcnt(1)
	v_mul_f16_e32 v0, v0, v4
	v_mad_u64_u32 v[4:5], null, s1, s2, v[1:2]
	s_lshr_b32 s1, s8, 27
	s_mov_b32 s8, 0
	s_add_i32 s3, s3, s1
	global_store_short v[2:3], v0, off
	s_ashr_i32 s1, s3, 5
	s_mov_b32 s3, 0
	v_add_nc_u32_e32 v13, s1, v11
	v_ashrrev_i32_e32 v5, 31, v4
	s_waitcnt vmcnt(0)
	v_ashrrev_i32_e32 v14, 31, v13
	v_lshlrev_b64 v[4:5], 1, v[4:5]
	v_lshlrev_b64 v[13:14], 2, v[13:14]
	v_add_co_u32 v15, s1, s10, v4
	v_add_co_ci_u32_e64 v16, null, s11, v5, s1
	v_add_co_u32 v4, s1, s12, v13
	v_add_co_ci_u32_e64 v5, null, s13, v14, s1
	global_load_ushort v0, v[15:16], off
	global_load_dword v13, v[4:5], off
                                        ; implicit-def: $vgpr14
	v_cmpx_lt_i32_e32 20, v10
	s_xor_b32 s9, exec_lo, s9
	s_cbranch_execnz .LBB6_306
; %bb.70:
	s_andn2_saveexec_b32 s9, s9
	s_cbranch_execnz .LBB6_309
.LBB6_71:
	s_or_b32 exec_lo, exec_lo, s9
	s_and_saveexec_b32 s1, s8
	s_xor_b32 s1, exec_lo, s1
	s_cbranch_execnz .LBB6_310
.LBB6_72:
	s_or_b32 exec_lo, exec_lo, s1
	s_and_saveexec_b32 s1, s3
	s_cbranch_execz .LBB6_74
.LBB6_73:
	global_load_dword v4, v[4:5], off offset:4
	s_waitcnt vmcnt(0)
	v_alignbit_b32 v4, v4, v13, 30
	v_and_b32_e32 v14, 7, v4
.LBB6_74:
	s_or_b32 exec_lo, exec_lo, s1
	v_add_co_u32 v2, s1, v2, s4
	v_add_co_ci_u32_e64 v3, null, s5, v3, s1
	s_load_dword s1, s[14:15], 0x30
	v_bfe_u32 v4, v12, 1, 3
	v_sub_nc_u32_e32 v5, s7, v14
	s_mov_b32 s9, exec_lo
	v_add_nc_u32_e32 v4, v5, v4
	v_cvt_f32_i32_e32 v4, v4
	v_cvt_f16_f32_e32 v4, v4
	s_waitcnt lgkmcnt(0)
	s_mul_i32 s3, s6, s1
	s_ashr_i32 s8, s3, 31
	s_waitcnt vmcnt(1)
	v_mul_f16_e32 v0, v0, v4
	v_mad_u64_u32 v[4:5], null, s1, s2, v[1:2]
	s_lshr_b32 s1, s8, 27
	s_mov_b32 s8, 0
	s_add_i32 s3, s3, s1
	global_store_short v[2:3], v0, off
	s_ashr_i32 s1, s3, 5
	s_mov_b32 s3, 0
	s_waitcnt vmcnt(0)
	v_add_nc_u32_e32 v13, s1, v11
	v_ashrrev_i32_e32 v5, 31, v4
	v_ashrrev_i32_e32 v14, 31, v13
	v_lshlrev_b64 v[4:5], 1, v[4:5]
	v_lshlrev_b64 v[13:14], 2, v[13:14]
	v_add_co_u32 v15, s1, s10, v4
	v_add_co_ci_u32_e64 v16, null, s11, v5, s1
	v_add_co_u32 v4, s1, s12, v13
	v_add_co_ci_u32_e64 v5, null, s13, v14, s1
	global_load_ushort v0, v[15:16], off
	global_load_dword v13, v[4:5], off
                                        ; implicit-def: $vgpr14
	v_cmpx_lt_i32_e32 20, v10
	s_xor_b32 s9, exec_lo, s9
	s_cbranch_execnz .LBB6_319
; %bb.75:
	s_andn2_saveexec_b32 s9, s9
	s_cbranch_execnz .LBB6_322
.LBB6_76:
	s_or_b32 exec_lo, exec_lo, s9
	s_and_saveexec_b32 s1, s8
	s_xor_b32 s1, exec_lo, s1
	s_cbranch_execnz .LBB6_323
.LBB6_77:
	s_or_b32 exec_lo, exec_lo, s1
	s_and_saveexec_b32 s1, s3
	s_cbranch_execz .LBB6_79
.LBB6_78:
	global_load_dword v4, v[4:5], off offset:4
	s_waitcnt vmcnt(0)
	v_alignbit_b32 v4, v4, v13, 30
	v_and_b32_e32 v14, 7, v4
.LBB6_79:
	s_or_b32 exec_lo, exec_lo, s1
	v_add_co_u32 v2, s1, v2, s4
	v_add_co_ci_u32_e64 v3, null, s5, v3, s1
	s_load_dword s1, s[14:15], 0x34
	v_bfe_u32 v4, v12, 4, 3
	v_sub_nc_u32_e32 v5, s7, v14
	s_mov_b32 s9, exec_lo
	v_add_nc_u32_e32 v4, v5, v4
	v_cvt_f32_i32_e32 v4, v4
	v_cvt_f16_f32_e32 v4, v4
	s_waitcnt lgkmcnt(0)
	s_mul_i32 s3, s6, s1
	s_ashr_i32 s8, s3, 31
	s_waitcnt vmcnt(1)
	v_mul_f16_e32 v0, v0, v4
	v_mad_u64_u32 v[4:5], null, s1, s2, v[1:2]
	s_lshr_b32 s1, s8, 27
	s_mov_b32 s8, 0
	s_add_i32 s3, s3, s1
	global_store_short v[2:3], v0, off
	s_ashr_i32 s1, s3, 5
	s_mov_b32 s3, 0
	s_waitcnt vmcnt(0)
	v_add_nc_u32_e32 v13, s1, v11
	v_ashrrev_i32_e32 v5, 31, v4
	v_ashrrev_i32_e32 v14, 31, v13
	v_lshlrev_b64 v[4:5], 1, v[4:5]
	v_lshlrev_b64 v[13:14], 2, v[13:14]
	v_add_co_u32 v15, s1, s10, v4
	v_add_co_ci_u32_e64 v16, null, s11, v5, s1
	v_add_co_u32 v4, s1, s12, v13
	v_add_co_ci_u32_e64 v5, null, s13, v14, s1
	global_load_ushort v0, v[15:16], off
	global_load_dword v13, v[4:5], off
                                        ; implicit-def: $vgpr14
	v_cmpx_lt_i32_e32 20, v10
	s_xor_b32 s9, exec_lo, s9
	s_cbranch_execnz .LBB6_332
; %bb.80:
	s_andn2_saveexec_b32 s9, s9
	s_cbranch_execnz .LBB6_335
.LBB6_81:
	s_or_b32 exec_lo, exec_lo, s9
	s_and_saveexec_b32 s1, s8
	s_xor_b32 s1, exec_lo, s1
	s_cbranch_execnz .LBB6_336
.LBB6_82:
	s_or_b32 exec_lo, exec_lo, s1
	s_and_saveexec_b32 s1, s3
	s_cbranch_execz .LBB6_84
.LBB6_83:
	global_load_dword v4, v[4:5], off offset:4
	s_waitcnt vmcnt(0)
	v_alignbit_b32 v4, v4, v13, 30
	v_and_b32_e32 v14, 7, v4
.LBB6_84:
	s_or_b32 exec_lo, exec_lo, s1
	v_add_co_u32 v2, s1, v2, s4
	v_add_co_ci_u32_e64 v3, null, s5, v3, s1
	s_load_dword s1, s[14:15], 0x38
	v_bfe_u32 v4, v12, 7, 3
	v_sub_nc_u32_e32 v5, s7, v14
	s_mov_b32 s9, exec_lo
	v_add_nc_u32_e32 v4, v5, v4
	v_cvt_f32_i32_e32 v4, v4
	v_cvt_f16_f32_e32 v4, v4
	s_waitcnt lgkmcnt(0)
	s_mul_i32 s3, s6, s1
	s_ashr_i32 s8, s3, 31
	s_waitcnt vmcnt(1)
	v_mul_f16_e32 v0, v0, v4
	v_mad_u64_u32 v[4:5], null, s1, s2, v[1:2]
	s_lshr_b32 s1, s8, 27
	s_mov_b32 s8, 0
	s_add_i32 s3, s3, s1
	global_store_short v[2:3], v0, off
	s_ashr_i32 s1, s3, 5
	s_mov_b32 s3, 0
	s_waitcnt vmcnt(0)
	v_add_nc_u32_e32 v13, s1, v11
	v_ashrrev_i32_e32 v5, 31, v4
	v_ashrrev_i32_e32 v14, 31, v13
	v_lshlrev_b64 v[4:5], 1, v[4:5]
	v_lshlrev_b64 v[13:14], 2, v[13:14]
	v_add_co_u32 v15, s1, s10, v4
	v_add_co_ci_u32_e64 v16, null, s11, v5, s1
	v_add_co_u32 v4, s1, s12, v13
	v_add_co_ci_u32_e64 v5, null, s13, v14, s1
	global_load_ushort v0, v[15:16], off
	global_load_dword v13, v[4:5], off
                                        ; implicit-def: $vgpr14
	v_cmpx_lt_i32_e32 20, v10
	s_xor_b32 s9, exec_lo, s9
	s_cbranch_execnz .LBB6_345
; %bb.85:
	s_andn2_saveexec_b32 s9, s9
	s_cbranch_execnz .LBB6_348
.LBB6_86:
	s_or_b32 exec_lo, exec_lo, s9
	s_and_saveexec_b32 s1, s8
	s_xor_b32 s1, exec_lo, s1
	s_cbranch_execnz .LBB6_349
.LBB6_87:
	s_or_b32 exec_lo, exec_lo, s1
	s_and_saveexec_b32 s1, s3
	s_cbranch_execz .LBB6_89
.LBB6_88:
	global_load_dword v4, v[4:5], off offset:4
	s_waitcnt vmcnt(0)
	v_alignbit_b32 v4, v4, v13, 30
	v_and_b32_e32 v14, 7, v4
.LBB6_89:
	s_or_b32 exec_lo, exec_lo, s1
	v_add_co_u32 v2, s1, v2, s4
	v_add_co_ci_u32_e64 v3, null, s5, v3, s1
	s_load_dword s1, s[14:15], 0x3c
	v_bfe_u32 v4, v12, 10, 3
	v_sub_nc_u32_e32 v5, s7, v14
	s_mov_b32 s9, exec_lo
	v_add_nc_u32_e32 v4, v5, v4
	v_cvt_f32_i32_e32 v4, v4
	v_cvt_f16_f32_e32 v4, v4
	s_waitcnt lgkmcnt(0)
	s_mul_i32 s3, s6, s1
	s_ashr_i32 s8, s3, 31
	s_waitcnt vmcnt(1)
	v_mul_f16_e32 v0, v0, v4
	v_mad_u64_u32 v[4:5], null, s1, s2, v[1:2]
	s_lshr_b32 s1, s8, 27
	s_mov_b32 s8, 0
	s_add_i32 s3, s3, s1
	global_store_short v[2:3], v0, off
	s_ashr_i32 s1, s3, 5
	s_mov_b32 s3, 0
	s_waitcnt vmcnt(0)
	v_add_nc_u32_e32 v13, s1, v11
	v_ashrrev_i32_e32 v5, 31, v4
	v_ashrrev_i32_e32 v14, 31, v13
	v_lshlrev_b64 v[4:5], 1, v[4:5]
	v_lshlrev_b64 v[13:14], 2, v[13:14]
	v_add_co_u32 v15, s1, s10, v4
	v_add_co_ci_u32_e64 v16, null, s11, v5, s1
	v_add_co_u32 v4, s1, s12, v13
	v_add_co_ci_u32_e64 v5, null, s13, v14, s1
	global_load_ushort v0, v[15:16], off
	global_load_dword v13, v[4:5], off
                                        ; implicit-def: $vgpr14
	v_cmpx_lt_i32_e32 20, v10
	s_xor_b32 s9, exec_lo, s9
	s_cbranch_execnz .LBB6_358
; %bb.90:
	s_andn2_saveexec_b32 s9, s9
	s_cbranch_execnz .LBB6_361
.LBB6_91:
	s_or_b32 exec_lo, exec_lo, s9
	s_and_saveexec_b32 s1, s8
	s_xor_b32 s1, exec_lo, s1
	s_cbranch_execnz .LBB6_362
.LBB6_92:
	s_or_b32 exec_lo, exec_lo, s1
	s_and_saveexec_b32 s1, s3
	s_cbranch_execz .LBB6_94
.LBB6_93:
	global_load_dword v4, v[4:5], off offset:4
	s_waitcnt vmcnt(0)
	v_alignbit_b32 v4, v4, v13, 30
	v_and_b32_e32 v14, 7, v4
.LBB6_94:
	s_or_b32 exec_lo, exec_lo, s1
	v_add_co_u32 v2, s1, v2, s4
	v_add_co_ci_u32_e64 v3, null, s5, v3, s1
	s_load_dword s1, s[14:15], 0x40
	v_bfe_u32 v4, v12, 13, 3
	v_sub_nc_u32_e32 v5, s7, v14
	s_mov_b32 s9, exec_lo
	v_add_nc_u32_e32 v4, v5, v4
	v_cvt_f32_i32_e32 v4, v4
	v_cvt_f16_f32_e32 v4, v4
	s_waitcnt lgkmcnt(0)
	s_mul_i32 s3, s6, s1
	s_ashr_i32 s8, s3, 31
	s_waitcnt vmcnt(1)
	v_mul_f16_e32 v0, v0, v4
	v_mad_u64_u32 v[4:5], null, s1, s2, v[1:2]
	s_lshr_b32 s1, s8, 27
	s_mov_b32 s8, 0
	s_add_i32 s3, s3, s1
	global_store_short v[2:3], v0, off
	s_ashr_i32 s1, s3, 5
	s_mov_b32 s3, 0
	s_waitcnt vmcnt(0)
	v_add_nc_u32_e32 v13, s1, v11
	v_ashrrev_i32_e32 v5, 31, v4
	v_ashrrev_i32_e32 v14, 31, v13
	v_lshlrev_b64 v[4:5], 1, v[4:5]
	v_lshlrev_b64 v[13:14], 2, v[13:14]
	v_add_co_u32 v15, s1, s10, v4
	v_add_co_ci_u32_e64 v16, null, s11, v5, s1
	v_add_co_u32 v4, s1, s12, v13
	v_add_co_ci_u32_e64 v5, null, s13, v14, s1
	global_load_ushort v0, v[15:16], off
	global_load_dword v13, v[4:5], off
                                        ; implicit-def: $vgpr14
	v_cmpx_lt_i32_e32 20, v10
	s_xor_b32 s9, exec_lo, s9
	s_cbranch_execnz .LBB6_371
; %bb.95:
	s_andn2_saveexec_b32 s9, s9
	s_cbranch_execnz .LBB6_374
.LBB6_96:
	s_or_b32 exec_lo, exec_lo, s9
	s_and_saveexec_b32 s1, s8
	s_xor_b32 s1, exec_lo, s1
	s_cbranch_execnz .LBB6_375
.LBB6_97:
	s_or_b32 exec_lo, exec_lo, s1
	s_and_saveexec_b32 s1, s3
	s_cbranch_execz .LBB6_99
.LBB6_98:
	global_load_dword v4, v[4:5], off offset:4
	s_waitcnt vmcnt(0)
	v_alignbit_b32 v4, v4, v13, 30
	v_and_b32_e32 v14, 7, v4
.LBB6_99:
	s_or_b32 exec_lo, exec_lo, s1
	v_add_co_u32 v2, s1, v2, s4
	v_add_co_ci_u32_e64 v3, null, s5, v3, s1
	s_load_dword s1, s[14:15], 0x44
	v_bfe_u32 v4, v12, 16, 3
	v_sub_nc_u32_e32 v5, s7, v14
	s_mov_b32 s9, exec_lo
	v_add_nc_u32_e32 v4, v5, v4
	v_cvt_f32_i32_e32 v4, v4
	v_cvt_f16_f32_e32 v4, v4
	s_waitcnt lgkmcnt(0)
	s_mul_i32 s3, s6, s1
	s_ashr_i32 s8, s3, 31
	s_waitcnt vmcnt(1)
	v_mul_f16_e32 v0, v0, v4
	v_mad_u64_u32 v[4:5], null, s1, s2, v[1:2]
	s_lshr_b32 s1, s8, 27
	s_mov_b32 s8, 0
	s_add_i32 s3, s3, s1
	global_store_short v[2:3], v0, off
	s_ashr_i32 s1, s3, 5
	s_mov_b32 s3, 0
	s_waitcnt vmcnt(0)
	v_add_nc_u32_e32 v13, s1, v11
	v_ashrrev_i32_e32 v5, 31, v4
	v_ashrrev_i32_e32 v14, 31, v13
	v_lshlrev_b64 v[4:5], 1, v[4:5]
	v_lshlrev_b64 v[13:14], 2, v[13:14]
	v_add_co_u32 v15, s1, s10, v4
	v_add_co_ci_u32_e64 v16, null, s11, v5, s1
	v_add_co_u32 v4, s1, s12, v13
	v_add_co_ci_u32_e64 v5, null, s13, v14, s1
	global_load_ushort v0, v[15:16], off
	global_load_dword v13, v[4:5], off
                                        ; implicit-def: $vgpr14
	v_cmpx_lt_i32_e32 20, v10
	s_xor_b32 s9, exec_lo, s9
	s_cbranch_execnz .LBB6_384
; %bb.100:
	s_andn2_saveexec_b32 s9, s9
	s_cbranch_execnz .LBB6_387
.LBB6_101:
	s_or_b32 exec_lo, exec_lo, s9
	s_and_saveexec_b32 s1, s8
	s_xor_b32 s1, exec_lo, s1
	s_cbranch_execnz .LBB6_388
.LBB6_102:
	s_or_b32 exec_lo, exec_lo, s1
	s_and_saveexec_b32 s1, s3
	s_cbranch_execz .LBB6_104
.LBB6_103:
	global_load_dword v4, v[4:5], off offset:4
	s_waitcnt vmcnt(0)
	v_alignbit_b32 v4, v4, v13, 30
	v_and_b32_e32 v14, 7, v4
.LBB6_104:
	s_or_b32 exec_lo, exec_lo, s1
	v_add_co_u32 v2, s1, v2, s4
	v_add_co_ci_u32_e64 v3, null, s5, v3, s1
	s_load_dword s1, s[14:15], 0x48
	v_bfe_u32 v4, v12, 19, 3
	v_sub_nc_u32_e32 v5, s7, v14
	s_mov_b32 s9, exec_lo
	v_add_nc_u32_e32 v4, v5, v4
	v_cvt_f32_i32_e32 v4, v4
	v_cvt_f16_f32_e32 v4, v4
	s_waitcnt lgkmcnt(0)
	s_mul_i32 s3, s6, s1
	s_ashr_i32 s8, s3, 31
	s_waitcnt vmcnt(1)
	v_mul_f16_e32 v0, v0, v4
	v_mad_u64_u32 v[4:5], null, s1, s2, v[1:2]
	s_lshr_b32 s1, s8, 27
	s_mov_b32 s8, 0
	s_add_i32 s3, s3, s1
	global_store_short v[2:3], v0, off
	s_ashr_i32 s1, s3, 5
	s_mov_b32 s3, 0
	s_waitcnt vmcnt(0)
	v_add_nc_u32_e32 v13, s1, v11
	v_ashrrev_i32_e32 v5, 31, v4
	v_ashrrev_i32_e32 v14, 31, v13
	v_lshlrev_b64 v[4:5], 1, v[4:5]
	v_lshlrev_b64 v[13:14], 2, v[13:14]
	v_add_co_u32 v15, s1, s10, v4
	v_add_co_ci_u32_e64 v16, null, s11, v5, s1
	v_add_co_u32 v4, s1, s12, v13
	v_add_co_ci_u32_e64 v5, null, s13, v14, s1
	global_load_ushort v0, v[15:16], off
	global_load_dword v13, v[4:5], off
                                        ; implicit-def: $vgpr14
	v_cmpx_lt_i32_e32 20, v10
	s_xor_b32 s9, exec_lo, s9
	s_cbranch_execnz .LBB6_397
; %bb.105:
	s_andn2_saveexec_b32 s9, s9
	s_cbranch_execnz .LBB6_400
.LBB6_106:
	s_or_b32 exec_lo, exec_lo, s9
	s_and_saveexec_b32 s1, s8
	s_xor_b32 s1, exec_lo, s1
	s_cbranch_execnz .LBB6_401
.LBB6_107:
	s_or_b32 exec_lo, exec_lo, s1
	s_and_saveexec_b32 s1, s3
	s_cbranch_execz .LBB6_109
.LBB6_108:
	global_load_dword v4, v[4:5], off offset:4
	s_waitcnt vmcnt(0)
	v_alignbit_b32 v4, v4, v13, 30
	v_and_b32_e32 v14, 7, v4
.LBB6_109:
	s_or_b32 exec_lo, exec_lo, s1
	v_add_co_u32 v2, s1, v2, s4
	v_add_co_ci_u32_e64 v3, null, s5, v3, s1
	s_load_dword s1, s[14:15], 0x4c
	v_bfe_u32 v4, v12, 22, 3
	v_sub_nc_u32_e32 v5, s7, v14
	s_mov_b32 s9, exec_lo
	v_add_nc_u32_e32 v4, v5, v4
	v_cvt_f32_i32_e32 v4, v4
	v_cvt_f16_f32_e32 v4, v4
	s_waitcnt lgkmcnt(0)
	s_mul_i32 s3, s6, s1
	s_ashr_i32 s8, s3, 31
	s_waitcnt vmcnt(1)
	v_mul_f16_e32 v0, v0, v4
	v_mad_u64_u32 v[4:5], null, s1, s2, v[1:2]
	s_lshr_b32 s1, s8, 27
	s_mov_b32 s8, 0
	s_add_i32 s3, s3, s1
	global_store_short v[2:3], v0, off
	s_ashr_i32 s1, s3, 5
	s_mov_b32 s3, 0
	s_waitcnt vmcnt(0)
	v_add_nc_u32_e32 v13, s1, v11
	v_ashrrev_i32_e32 v5, 31, v4
	v_ashrrev_i32_e32 v14, 31, v13
	v_lshlrev_b64 v[4:5], 1, v[4:5]
	v_lshlrev_b64 v[13:14], 2, v[13:14]
	v_add_co_u32 v15, s1, s10, v4
	v_add_co_ci_u32_e64 v16, null, s11, v5, s1
	v_add_co_u32 v4, s1, s12, v13
	v_add_co_ci_u32_e64 v5, null, s13, v14, s1
	global_load_ushort v0, v[15:16], off
	global_load_dword v13, v[4:5], off
                                        ; implicit-def: $vgpr14
	v_cmpx_lt_i32_e32 20, v10
	s_xor_b32 s9, exec_lo, s9
	s_cbranch_execnz .LBB6_410
; %bb.110:
	s_andn2_saveexec_b32 s9, s9
	s_cbranch_execnz .LBB6_413
.LBB6_111:
	s_or_b32 exec_lo, exec_lo, s9
	s_and_saveexec_b32 s1, s8
	s_xor_b32 s1, exec_lo, s1
	s_cbranch_execnz .LBB6_414
.LBB6_112:
	s_or_b32 exec_lo, exec_lo, s1
	s_and_saveexec_b32 s1, s3
	s_cbranch_execz .LBB6_114
.LBB6_113:
	global_load_dword v4, v[4:5], off offset:4
	s_waitcnt vmcnt(0)
	v_alignbit_b32 v4, v4, v13, 30
	v_and_b32_e32 v14, 7, v4
.LBB6_114:
	s_or_b32 exec_lo, exec_lo, s1
	v_add_co_u32 v2, s1, v2, s4
	v_add_co_ci_u32_e64 v3, null, s5, v3, s1
	s_load_dword s1, s[14:15], 0x50
	v_bfe_u32 v4, v12, 25, 3
	v_sub_nc_u32_e32 v5, s7, v14
	s_mov_b32 s9, exec_lo
	v_add_nc_u32_e32 v4, v5, v4
	v_cvt_f32_i32_e32 v4, v4
	v_cvt_f16_f32_e32 v4, v4
	s_waitcnt lgkmcnt(0)
	s_mul_i32 s3, s6, s1
	s_ashr_i32 s8, s3, 31
	s_waitcnt vmcnt(1)
	v_mul_f16_e32 v0, v0, v4
	v_mad_u64_u32 v[4:5], null, s1, s2, v[1:2]
	s_lshr_b32 s1, s8, 27
	s_mov_b32 s8, 0
	s_add_i32 s3, s3, s1
	global_store_short v[2:3], v0, off
	s_ashr_i32 s1, s3, 5
	s_mov_b32 s3, 0
	s_waitcnt vmcnt(0)
	v_add_nc_u32_e32 v13, s1, v11
	v_ashrrev_i32_e32 v5, 31, v4
	v_ashrrev_i32_e32 v14, 31, v13
	v_lshlrev_b64 v[4:5], 1, v[4:5]
	v_lshlrev_b64 v[13:14], 2, v[13:14]
	v_add_co_u32 v15, s1, s10, v4
	v_add_co_ci_u32_e64 v16, null, s11, v5, s1
	v_add_co_u32 v4, s1, s12, v13
	v_add_co_ci_u32_e64 v5, null, s13, v14, s1
	global_load_ushort v0, v[15:16], off
	global_load_dword v13, v[4:5], off
                                        ; implicit-def: $vgpr14
	v_cmpx_lt_i32_e32 20, v10
	s_xor_b32 s9, exec_lo, s9
	s_cbranch_execnz .LBB6_423
; %bb.115:
	s_andn2_saveexec_b32 s9, s9
	s_cbranch_execnz .LBB6_426
.LBB6_116:
	s_or_b32 exec_lo, exec_lo, s9
	s_and_saveexec_b32 s1, s8
	s_xor_b32 s1, exec_lo, s1
	s_cbranch_execnz .LBB6_427
.LBB6_117:
	s_or_b32 exec_lo, exec_lo, s1
	s_and_saveexec_b32 s1, s3
	s_cbranch_execz .LBB6_119
.LBB6_118:
	global_load_dword v4, v[4:5], off offset:4
	s_waitcnt vmcnt(0)
	v_alignbit_b32 v4, v4, v13, 30
	v_and_b32_e32 v14, 7, v4
.LBB6_119:
	s_or_b32 exec_lo, exec_lo, s1
	v_bfe_u32 v4, v12, 28, 3
	v_sub_nc_u32_e32 v5, s7, v14
	v_add_co_u32 v2, s1, v2, s4
	v_add_co_ci_u32_e64 v3, null, s5, v3, s1
	v_add_nc_u32_e32 v4, v5, v4
	s_mov_b32 s9, exec_lo
	v_cvt_f32_i32_e32 v4, v4
	v_cvt_f16_f32_e32 v4, v4
	s_waitcnt vmcnt(1)
	v_mul_f16_e32 v0, v0, v4
	global_store_short v[2:3], v0, off
	s_load_dword s1, s[14:15], 0x54
	s_waitcnt lgkmcnt(0)
	s_mul_i32 s3, s6, s1
	v_mad_u64_u32 v[4:5], null, s1, s2, v[1:2]
	s_ashr_i32 s8, s3, 31
	s_lshr_b32 s1, s8, 27
	s_mov_b32 s8, 0
	s_add_i32 s3, s3, s1
	s_ashr_i32 s1, s3, 5
	v_ashrrev_i32_e32 v5, 31, v4
	s_waitcnt vmcnt(0)
	v_add_nc_u32_e32 v13, s1, v11
	s_mov_b32 s3, 0
	v_lshlrev_b64 v[4:5], 1, v[4:5]
	v_ashrrev_i32_e32 v14, 31, v13
	v_add_co_u32 v15, s1, s10, v4
	v_lshlrev_b64 v[13:14], 2, v[13:14]
	v_add_co_ci_u32_e64 v16, null, s11, v5, s1
	v_add_co_u32 v4, s1, s12, v13
	v_add_co_ci_u32_e64 v5, null, s13, v14, s1
	global_load_ushort v0, v[15:16], off
	global_load_dword v13, v[4:5], off
                                        ; implicit-def: $vgpr14
	v_cmpx_lt_i32_e32 20, v10
	s_xor_b32 s9, exec_lo, s9
	s_cbranch_execnz .LBB6_436
; %bb.120:
	s_andn2_saveexec_b32 s9, s9
	s_cbranch_execnz .LBB6_439
.LBB6_121:
	s_or_b32 exec_lo, exec_lo, s9
	s_and_saveexec_b32 s1, s8
	s_xor_b32 s1, exec_lo, s1
	s_cbranch_execnz .LBB6_440
.LBB6_122:
	s_or_b32 exec_lo, exec_lo, s1
	s_and_saveexec_b32 s1, s3
	s_cbranch_execz .LBB6_124
.LBB6_123:
	global_load_dword v4, v[4:5], off offset:4
	s_waitcnt vmcnt(0)
	v_alignbit_b32 v4, v4, v13, 30
	v_and_b32_e32 v14, 7, v4
.LBB6_124:
	s_or_b32 exec_lo, exec_lo, s1
	v_alignbit_b32 v4, v6, v12, 31
	v_sub_nc_u32_e32 v5, s7, v14
	v_add_co_u32 v2, s1, v2, s4
	v_add_co_ci_u32_e64 v3, null, s5, v3, s1
	v_and_b32_e32 v4, 7, v4
	s_mov_b32 s9, exec_lo
	v_add_nc_u32_e32 v4, v5, v4
	v_cvt_f32_i32_e32 v4, v4
	v_cvt_f16_f32_e32 v4, v4
	s_waitcnt vmcnt(1)
	v_mul_f16_e32 v0, v0, v4
	global_store_short v[2:3], v0, off
	s_load_dword s1, s[14:15], 0x58
	s_waitcnt lgkmcnt(0)
	s_mul_i32 s3, s6, s1
	v_mad_u64_u32 v[4:5], null, s1, s2, v[1:2]
	s_ashr_i32 s8, s3, 31
	s_lshr_b32 s1, s8, 27
	s_mov_b32 s8, 0
	s_add_i32 s3, s3, s1
	s_ashr_i32 s1, s3, 5
	v_ashrrev_i32_e32 v5, 31, v4
	v_add_nc_u32_e32 v12, s1, v11
	s_mov_b32 s3, 0
	v_lshlrev_b64 v[4:5], 1, v[4:5]
	s_waitcnt vmcnt(0)
	v_ashrrev_i32_e32 v13, 31, v12
	v_add_co_u32 v14, s1, s10, v4
	v_lshlrev_b64 v[12:13], 2, v[12:13]
	v_add_co_ci_u32_e64 v15, null, s11, v5, s1
	v_add_co_u32 v4, s1, s12, v12
	v_add_co_ci_u32_e64 v5, null, s13, v13, s1
	global_load_ushort v0, v[14:15], off
	global_load_dword v12, v[4:5], off
                                        ; implicit-def: $vgpr13
	v_cmpx_lt_i32_e32 20, v10
	s_xor_b32 s9, exec_lo, s9
	s_cbranch_execnz .LBB6_449
; %bb.125:
	s_andn2_saveexec_b32 s9, s9
	s_cbranch_execnz .LBB6_452
.LBB6_126:
	s_or_b32 exec_lo, exec_lo, s9
	s_and_saveexec_b32 s1, s8
	s_xor_b32 s1, exec_lo, s1
	s_cbranch_execnz .LBB6_453
.LBB6_127:
	s_or_b32 exec_lo, exec_lo, s1
	s_and_saveexec_b32 s1, s3
	s_cbranch_execz .LBB6_129
.LBB6_128:
	global_load_dword v4, v[4:5], off offset:4
	s_waitcnt vmcnt(0)
	v_alignbit_b32 v4, v4, v12, 30
	v_and_b32_e32 v13, 7, v4
.LBB6_129:
	s_or_b32 exec_lo, exec_lo, s1
	v_bfe_u32 v4, v6, 2, 3
	v_sub_nc_u32_e32 v5, s7, v13
	v_add_co_u32 v2, s1, v2, s4
	v_add_co_ci_u32_e64 v3, null, s5, v3, s1
	v_add_nc_u32_e32 v4, v5, v4
	s_mov_b32 s9, exec_lo
	v_cvt_f32_i32_e32 v4, v4
	v_cvt_f16_f32_e32 v4, v4
	s_waitcnt vmcnt(1)
	v_mul_f16_e32 v0, v0, v4
	global_store_short v[2:3], v0, off
	s_load_dword s1, s[14:15], 0x5c
	s_waitcnt lgkmcnt(0)
	s_mul_i32 s3, s6, s1
	v_mad_u64_u32 v[4:5], null, s1, s2, v[1:2]
	s_ashr_i32 s8, s3, 31
	s_lshr_b32 s1, s8, 27
	s_mov_b32 s8, 0
	s_add_i32 s3, s3, s1
	s_ashr_i32 s1, s3, 5
	v_ashrrev_i32_e32 v5, 31, v4
	s_waitcnt vmcnt(0)
	v_add_nc_u32_e32 v12, s1, v11
	s_mov_b32 s3, 0
	v_lshlrev_b64 v[4:5], 1, v[4:5]
	v_ashrrev_i32_e32 v13, 31, v12
	v_add_co_u32 v14, s1, s10, v4
	v_lshlrev_b64 v[12:13], 2, v[12:13]
	v_add_co_ci_u32_e64 v15, null, s11, v5, s1
	v_add_co_u32 v4, s1, s12, v12
	v_add_co_ci_u32_e64 v5, null, s13, v13, s1
	global_load_ushort v0, v[14:15], off
	global_load_dword v12, v[4:5], off
                                        ; implicit-def: $vgpr13
	v_cmpx_lt_i32_e32 20, v10
	s_xor_b32 s9, exec_lo, s9
	s_cbranch_execnz .LBB6_462
; %bb.130:
	s_andn2_saveexec_b32 s9, s9
	s_cbranch_execnz .LBB6_465
.LBB6_131:
	s_or_b32 exec_lo, exec_lo, s9
	s_and_saveexec_b32 s1, s8
	s_xor_b32 s1, exec_lo, s1
	s_cbranch_execnz .LBB6_466
.LBB6_132:
	s_or_b32 exec_lo, exec_lo, s1
	s_and_saveexec_b32 s1, s3
	s_cbranch_execz .LBB6_134
.LBB6_133:
	global_load_dword v4, v[4:5], off offset:4
	s_waitcnt vmcnt(0)
	v_alignbit_b32 v4, v4, v12, 30
	v_and_b32_e32 v13, 7, v4
.LBB6_134:
	s_or_b32 exec_lo, exec_lo, s1
	v_bfe_u32 v4, v6, 5, 3
	v_sub_nc_u32_e32 v5, s7, v13
	v_add_co_u32 v2, s1, v2, s4
	v_add_co_ci_u32_e64 v3, null, s5, v3, s1
	v_add_nc_u32_e32 v4, v5, v4
	s_mov_b32 s9, exec_lo
	v_cvt_f32_i32_e32 v4, v4
	v_cvt_f16_f32_e32 v4, v4
	s_waitcnt vmcnt(1)
	v_mul_f16_e32 v0, v0, v4
	global_store_short v[2:3], v0, off
	s_load_dword s1, s[14:15], 0x60
	s_waitcnt lgkmcnt(0)
	s_mul_i32 s3, s6, s1
	v_mad_u64_u32 v[4:5], null, s1, s2, v[1:2]
	s_ashr_i32 s8, s3, 31
	s_lshr_b32 s1, s8, 27
	s_mov_b32 s8, 0
	s_add_i32 s3, s3, s1
	s_ashr_i32 s1, s3, 5
	v_ashrrev_i32_e32 v5, 31, v4
	s_waitcnt vmcnt(0)
	v_add_nc_u32_e32 v12, s1, v11
	s_mov_b32 s3, 0
	v_lshlrev_b64 v[4:5], 1, v[4:5]
	v_ashrrev_i32_e32 v13, 31, v12
	v_add_co_u32 v14, s1, s10, v4
	v_lshlrev_b64 v[12:13], 2, v[12:13]
	v_add_co_ci_u32_e64 v15, null, s11, v5, s1
	v_add_co_u32 v4, s1, s12, v12
	v_add_co_ci_u32_e64 v5, null, s13, v13, s1
	global_load_ushort v0, v[14:15], off
	global_load_dword v12, v[4:5], off
                                        ; implicit-def: $vgpr13
	v_cmpx_lt_i32_e32 20, v10
	s_xor_b32 s9, exec_lo, s9
	s_cbranch_execnz .LBB6_475
; %bb.135:
	s_andn2_saveexec_b32 s9, s9
	s_cbranch_execnz .LBB6_478
.LBB6_136:
	s_or_b32 exec_lo, exec_lo, s9
	s_and_saveexec_b32 s1, s8
	s_xor_b32 s1, exec_lo, s1
	s_cbranch_execnz .LBB6_479
.LBB6_137:
	s_or_b32 exec_lo, exec_lo, s1
	s_and_saveexec_b32 s1, s3
	s_cbranch_execz .LBB6_139
.LBB6_138:
	global_load_dword v4, v[4:5], off offset:4
	s_waitcnt vmcnt(0)
	v_alignbit_b32 v4, v4, v12, 30
	v_and_b32_e32 v13, 7, v4
.LBB6_139:
	s_or_b32 exec_lo, exec_lo, s1
	v_bfe_u32 v4, v6, 8, 3
	v_sub_nc_u32_e32 v5, s7, v13
	v_add_co_u32 v2, s1, v2, s4
	v_add_co_ci_u32_e64 v3, null, s5, v3, s1
	v_add_nc_u32_e32 v4, v5, v4
	s_mov_b32 s9, exec_lo
	v_cvt_f32_i32_e32 v4, v4
	v_cvt_f16_f32_e32 v4, v4
	s_waitcnt vmcnt(1)
	v_mul_f16_e32 v0, v0, v4
	global_store_short v[2:3], v0, off
	s_load_dword s1, s[14:15], 0x64
	s_waitcnt lgkmcnt(0)
	s_mul_i32 s3, s6, s1
	v_mad_u64_u32 v[4:5], null, s1, s2, v[1:2]
	s_ashr_i32 s8, s3, 31
	s_lshr_b32 s1, s8, 27
	s_mov_b32 s8, 0
	s_add_i32 s3, s3, s1
	s_ashr_i32 s1, s3, 5
	v_ashrrev_i32_e32 v5, 31, v4
	s_waitcnt vmcnt(0)
	v_add_nc_u32_e32 v12, s1, v11
	s_mov_b32 s3, 0
	v_lshlrev_b64 v[4:5], 1, v[4:5]
	v_ashrrev_i32_e32 v13, 31, v12
	v_add_co_u32 v14, s1, s10, v4
	v_lshlrev_b64 v[12:13], 2, v[12:13]
	v_add_co_ci_u32_e64 v15, null, s11, v5, s1
	v_add_co_u32 v4, s1, s12, v12
	v_add_co_ci_u32_e64 v5, null, s13, v13, s1
	global_load_ushort v0, v[14:15], off
	global_load_dword v12, v[4:5], off
                                        ; implicit-def: $vgpr13
	v_cmpx_lt_i32_e32 20, v10
	s_xor_b32 s9, exec_lo, s9
	s_cbranch_execnz .LBB6_488
; %bb.140:
	s_andn2_saveexec_b32 s9, s9
	s_cbranch_execnz .LBB6_491
.LBB6_141:
	s_or_b32 exec_lo, exec_lo, s9
	s_and_saveexec_b32 s1, s8
	s_xor_b32 s1, exec_lo, s1
	s_cbranch_execnz .LBB6_492
.LBB6_142:
	s_or_b32 exec_lo, exec_lo, s1
	s_and_saveexec_b32 s1, s3
	s_cbranch_execz .LBB6_144
.LBB6_143:
	global_load_dword v4, v[4:5], off offset:4
	s_waitcnt vmcnt(0)
	v_alignbit_b32 v4, v4, v12, 30
	v_and_b32_e32 v13, 7, v4
.LBB6_144:
	s_or_b32 exec_lo, exec_lo, s1
	v_bfe_u32 v4, v6, 11, 3
	v_sub_nc_u32_e32 v5, s7, v13
	v_add_co_u32 v2, s1, v2, s4
	v_add_co_ci_u32_e64 v3, null, s5, v3, s1
	v_add_nc_u32_e32 v4, v5, v4
	s_mov_b32 s9, exec_lo
	v_cvt_f32_i32_e32 v4, v4
	v_cvt_f16_f32_e32 v4, v4
	s_waitcnt vmcnt(1)
	v_mul_f16_e32 v0, v0, v4
	global_store_short v[2:3], v0, off
	s_load_dword s1, s[14:15], 0x68
	s_waitcnt lgkmcnt(0)
	s_mul_i32 s3, s6, s1
	v_mad_u64_u32 v[4:5], null, s1, s2, v[1:2]
	s_ashr_i32 s8, s3, 31
	s_lshr_b32 s1, s8, 27
	s_mov_b32 s8, 0
	s_add_i32 s3, s3, s1
	s_ashr_i32 s1, s3, 5
	v_ashrrev_i32_e32 v5, 31, v4
	s_waitcnt vmcnt(0)
	v_add_nc_u32_e32 v12, s1, v11
	s_mov_b32 s3, 0
	v_lshlrev_b64 v[4:5], 1, v[4:5]
	v_ashrrev_i32_e32 v13, 31, v12
	v_add_co_u32 v14, s1, s10, v4
	v_lshlrev_b64 v[12:13], 2, v[12:13]
	v_add_co_ci_u32_e64 v15, null, s11, v5, s1
	v_add_co_u32 v4, s1, s12, v12
	v_add_co_ci_u32_e64 v5, null, s13, v13, s1
	global_load_ushort v0, v[14:15], off
	global_load_dword v12, v[4:5], off
                                        ; implicit-def: $vgpr13
	v_cmpx_lt_i32_e32 20, v10
	s_xor_b32 s9, exec_lo, s9
	s_cbranch_execnz .LBB6_501
; %bb.145:
	s_andn2_saveexec_b32 s9, s9
	s_cbranch_execnz .LBB6_504
.LBB6_146:
	s_or_b32 exec_lo, exec_lo, s9
	s_and_saveexec_b32 s1, s8
	s_xor_b32 s1, exec_lo, s1
	s_cbranch_execnz .LBB6_505
.LBB6_147:
	s_or_b32 exec_lo, exec_lo, s1
	s_and_saveexec_b32 s1, s3
	s_cbranch_execz .LBB6_149
.LBB6_148:
	global_load_dword v4, v[4:5], off offset:4
	s_waitcnt vmcnt(0)
	v_alignbit_b32 v4, v4, v12, 30
	v_and_b32_e32 v13, 7, v4
.LBB6_149:
	s_or_b32 exec_lo, exec_lo, s1
	v_bfe_u32 v4, v6, 14, 3
	v_sub_nc_u32_e32 v5, s7, v13
	v_add_co_u32 v2, s1, v2, s4
	v_add_co_ci_u32_e64 v3, null, s5, v3, s1
	v_add_nc_u32_e32 v4, v5, v4
	s_mov_b32 s9, exec_lo
	v_cvt_f32_i32_e32 v4, v4
	v_cvt_f16_f32_e32 v4, v4
	s_waitcnt vmcnt(1)
	v_mul_f16_e32 v0, v0, v4
	global_store_short v[2:3], v0, off
	s_load_dword s1, s[14:15], 0x6c
	s_waitcnt lgkmcnt(0)
	s_mul_i32 s3, s6, s1
	v_mad_u64_u32 v[4:5], null, s1, s2, v[1:2]
	s_ashr_i32 s8, s3, 31
	s_lshr_b32 s1, s8, 27
	s_mov_b32 s8, 0
	s_add_i32 s3, s3, s1
	s_ashr_i32 s1, s3, 5
	v_ashrrev_i32_e32 v5, 31, v4
	s_waitcnt vmcnt(0)
	v_add_nc_u32_e32 v12, s1, v11
	s_mov_b32 s3, 0
	v_lshlrev_b64 v[4:5], 1, v[4:5]
	v_ashrrev_i32_e32 v13, 31, v12
	v_add_co_u32 v14, s1, s10, v4
	v_lshlrev_b64 v[12:13], 2, v[12:13]
	v_add_co_ci_u32_e64 v15, null, s11, v5, s1
	v_add_co_u32 v4, s1, s12, v12
	v_add_co_ci_u32_e64 v5, null, s13, v13, s1
	global_load_ushort v0, v[14:15], off
	global_load_dword v12, v[4:5], off
                                        ; implicit-def: $vgpr13
	v_cmpx_lt_i32_e32 20, v10
	s_xor_b32 s9, exec_lo, s9
	s_cbranch_execnz .LBB6_514
; %bb.150:
	s_andn2_saveexec_b32 s9, s9
	s_cbranch_execnz .LBB6_517
.LBB6_151:
	s_or_b32 exec_lo, exec_lo, s9
	s_and_saveexec_b32 s1, s8
	s_xor_b32 s1, exec_lo, s1
	s_cbranch_execnz .LBB6_518
.LBB6_152:
	s_or_b32 exec_lo, exec_lo, s1
	s_and_saveexec_b32 s1, s3
	s_cbranch_execz .LBB6_154
.LBB6_153:
	global_load_dword v4, v[4:5], off offset:4
	s_waitcnt vmcnt(0)
	v_alignbit_b32 v4, v4, v12, 30
	v_and_b32_e32 v13, 7, v4
.LBB6_154:
	s_or_b32 exec_lo, exec_lo, s1
	v_bfe_u32 v4, v6, 17, 3
	v_sub_nc_u32_e32 v5, s7, v13
	v_add_co_u32 v2, s1, v2, s4
	v_add_co_ci_u32_e64 v3, null, s5, v3, s1
	v_add_nc_u32_e32 v4, v5, v4
	s_mov_b32 s9, exec_lo
	v_cvt_f32_i32_e32 v4, v4
	v_cvt_f16_f32_e32 v4, v4
	s_waitcnt vmcnt(1)
	v_mul_f16_e32 v0, v0, v4
	global_store_short v[2:3], v0, off
	s_load_dword s1, s[14:15], 0x70
	s_waitcnt lgkmcnt(0)
	s_mul_i32 s3, s6, s1
	v_mad_u64_u32 v[4:5], null, s1, s2, v[1:2]
	s_ashr_i32 s8, s3, 31
	s_lshr_b32 s1, s8, 27
	s_mov_b32 s8, 0
	s_add_i32 s3, s3, s1
	s_ashr_i32 s1, s3, 5
	v_ashrrev_i32_e32 v5, 31, v4
	s_waitcnt vmcnt(0)
	v_add_nc_u32_e32 v12, s1, v11
	s_mov_b32 s3, 0
	v_lshlrev_b64 v[4:5], 1, v[4:5]
	v_ashrrev_i32_e32 v13, 31, v12
	v_add_co_u32 v14, s1, s10, v4
	v_lshlrev_b64 v[12:13], 2, v[12:13]
	v_add_co_ci_u32_e64 v15, null, s11, v5, s1
	v_add_co_u32 v4, s1, s12, v12
	v_add_co_ci_u32_e64 v5, null, s13, v13, s1
	global_load_ushort v0, v[14:15], off
	global_load_dword v12, v[4:5], off
                                        ; implicit-def: $vgpr13
	v_cmpx_lt_i32_e32 20, v10
	s_xor_b32 s9, exec_lo, s9
	s_cbranch_execnz .LBB6_527
; %bb.155:
	s_andn2_saveexec_b32 s9, s9
	s_cbranch_execnz .LBB6_530
.LBB6_156:
	s_or_b32 exec_lo, exec_lo, s9
	s_and_saveexec_b32 s1, s8
	s_xor_b32 s1, exec_lo, s1
	s_cbranch_execnz .LBB6_531
.LBB6_157:
	s_or_b32 exec_lo, exec_lo, s1
	s_and_saveexec_b32 s1, s3
	s_cbranch_execz .LBB6_159
.LBB6_158:
	global_load_dword v4, v[4:5], off offset:4
	s_waitcnt vmcnt(0)
	v_alignbit_b32 v4, v4, v12, 30
	v_and_b32_e32 v13, 7, v4
.LBB6_159:
	s_or_b32 exec_lo, exec_lo, s1
	v_bfe_u32 v4, v6, 20, 3
	v_sub_nc_u32_e32 v5, s7, v13
	v_add_co_u32 v2, s1, v2, s4
	v_add_co_ci_u32_e64 v3, null, s5, v3, s1
	v_add_nc_u32_e32 v4, v5, v4
	s_mov_b32 s9, exec_lo
	v_cvt_f32_i32_e32 v4, v4
	v_cvt_f16_f32_e32 v4, v4
	s_waitcnt vmcnt(1)
	v_mul_f16_e32 v0, v0, v4
	global_store_short v[2:3], v0, off
	s_load_dword s1, s[14:15], 0x74
	s_waitcnt lgkmcnt(0)
	s_mul_i32 s3, s6, s1
	v_mad_u64_u32 v[4:5], null, s1, s2, v[1:2]
	s_ashr_i32 s8, s3, 31
	s_lshr_b32 s1, s8, 27
	s_mov_b32 s8, 0
	s_add_i32 s3, s3, s1
	s_ashr_i32 s1, s3, 5
	v_ashrrev_i32_e32 v5, 31, v4
	s_waitcnt vmcnt(0)
	v_add_nc_u32_e32 v12, s1, v11
	s_mov_b32 s3, 0
	v_lshlrev_b64 v[4:5], 1, v[4:5]
	v_ashrrev_i32_e32 v13, 31, v12
	v_add_co_u32 v14, s1, s10, v4
	v_lshlrev_b64 v[12:13], 2, v[12:13]
	v_add_co_ci_u32_e64 v15, null, s11, v5, s1
	v_add_co_u32 v4, s1, s12, v12
	v_add_co_ci_u32_e64 v5, null, s13, v13, s1
	global_load_ushort v0, v[14:15], off
	global_load_dword v12, v[4:5], off
                                        ; implicit-def: $vgpr13
	v_cmpx_lt_i32_e32 20, v10
	s_xor_b32 s9, exec_lo, s9
	s_cbranch_execnz .LBB6_540
; %bb.160:
	s_andn2_saveexec_b32 s9, s9
	s_cbranch_execnz .LBB6_543
.LBB6_161:
	s_or_b32 exec_lo, exec_lo, s9
	s_and_saveexec_b32 s1, s8
	s_xor_b32 s1, exec_lo, s1
	s_cbranch_execnz .LBB6_544
.LBB6_162:
	s_or_b32 exec_lo, exec_lo, s1
	s_and_saveexec_b32 s1, s3
	s_cbranch_execz .LBB6_164
.LBB6_163:
	global_load_dword v4, v[4:5], off offset:4
	s_waitcnt vmcnt(0)
	v_alignbit_b32 v4, v4, v12, 30
	v_and_b32_e32 v13, 7, v4
.LBB6_164:
	s_or_b32 exec_lo, exec_lo, s1
	v_bfe_u32 v4, v6, 23, 3
	v_sub_nc_u32_e32 v5, s7, v13
	v_add_co_u32 v2, s1, v2, s4
	v_add_co_ci_u32_e64 v3, null, s5, v3, s1
	v_add_nc_u32_e32 v4, v5, v4
	s_mov_b32 s9, exec_lo
	v_cvt_f32_i32_e32 v4, v4
	v_cvt_f16_f32_e32 v4, v4
	s_waitcnt vmcnt(1)
	v_mul_f16_e32 v0, v0, v4
	global_store_short v[2:3], v0, off
	s_load_dword s1, s[14:15], 0x78
	s_waitcnt lgkmcnt(0)
	s_mul_i32 s3, s6, s1
	v_mad_u64_u32 v[4:5], null, s1, s2, v[1:2]
	s_ashr_i32 s8, s3, 31
	s_lshr_b32 s1, s8, 27
	s_mov_b32 s8, 0
	s_add_i32 s3, s3, s1
	s_ashr_i32 s1, s3, 5
	v_ashrrev_i32_e32 v5, 31, v4
	s_waitcnt vmcnt(0)
	v_add_nc_u32_e32 v12, s1, v11
	s_mov_b32 s3, 0
	v_lshlrev_b64 v[4:5], 1, v[4:5]
	v_ashrrev_i32_e32 v13, 31, v12
	v_add_co_u32 v14, s1, s10, v4
	v_lshlrev_b64 v[12:13], 2, v[12:13]
	v_add_co_ci_u32_e64 v15, null, s11, v5, s1
	v_add_co_u32 v4, s1, s12, v12
	v_add_co_ci_u32_e64 v5, null, s13, v13, s1
	global_load_ushort v0, v[14:15], off
	global_load_dword v12, v[4:5], off
                                        ; implicit-def: $vgpr13
	v_cmpx_lt_i32_e32 20, v10
	s_xor_b32 s9, exec_lo, s9
	s_cbranch_execnz .LBB6_553
; %bb.165:
	s_andn2_saveexec_b32 s9, s9
	s_cbranch_execnz .LBB6_556
.LBB6_166:
	s_or_b32 exec_lo, exec_lo, s9
	s_and_saveexec_b32 s1, s8
	s_xor_b32 s1, exec_lo, s1
	s_cbranch_execnz .LBB6_557
.LBB6_167:
	s_or_b32 exec_lo, exec_lo, s1
	s_and_saveexec_b32 s1, s3
	s_cbranch_execz .LBB6_169
.LBB6_168:
	global_load_dword v4, v[4:5], off offset:4
	s_waitcnt vmcnt(0)
	v_alignbit_b32 v4, v4, v12, 30
	v_and_b32_e32 v13, 7, v4
.LBB6_169:
	s_or_b32 exec_lo, exec_lo, s1
	v_bfe_u32 v4, v6, 26, 3
	v_sub_nc_u32_e32 v5, s7, v13
	v_add_co_u32 v2, s1, v2, s4
	v_add_co_ci_u32_e64 v3, null, s5, v3, s1
	v_add_nc_u32_e32 v4, v5, v4
	v_cvt_f32_i32_e32 v4, v4
	v_cvt_f16_f32_e32 v4, v4
	s_waitcnt vmcnt(1)
	v_mul_f16_e32 v0, v0, v4
	global_store_short v[2:3], v0, off
	s_load_dword s1, s[14:15], 0x7c
	s_waitcnt lgkmcnt(0)
	s_mul_i32 s3, s6, s1
	v_mad_u64_u32 v[0:1], null, s1, s2, v[1:2]
	s_ashr_i32 s6, s3, 31
	s_mov_b32 s2, 0
	s_lshr_b32 s1, s6, 27
	s_mov_b32 s6, exec_lo
	s_add_i32 s3, s3, s1
	s_ashr_i32 s1, s3, 5
	v_ashrrev_i32_e32 v1, 31, v0
	v_add_nc_u32_e32 v4, s1, v11
	s_mov_b32 s3, 0
	v_lshlrev_b64 v[0:1], 1, v[0:1]
	v_ashrrev_i32_e32 v5, 31, v4
	v_add_co_u32 v11, s1, s10, v0
	v_lshlrev_b64 v[4:5], 2, v[4:5]
	s_waitcnt vmcnt(0)
	v_add_co_ci_u32_e64 v12, null, s11, v1, s1
	v_add_co_u32 v0, s1, s12, v4
	v_add_co_ci_u32_e64 v1, null, s13, v5, s1
	global_load_ushort v4, v[11:12], off
	global_load_dword v5, v[0:1], off
                                        ; implicit-def: $vgpr11
	v_cmpx_lt_i32_e32 20, v10
	s_xor_b32 s6, exec_lo, s6
	s_cbranch_execnz .LBB6_566
; %bb.170:
	s_andn2_saveexec_b32 s6, s6
	s_cbranch_execnz .LBB6_569
.LBB6_171:
	s_or_b32 exec_lo, exec_lo, s6
	s_and_saveexec_b32 s1, s3
	s_xor_b32 s1, exec_lo, s1
	s_cbranch_execnz .LBB6_570
.LBB6_172:
	s_or_b32 exec_lo, exec_lo, s1
	s_and_saveexec_b32 s0, s2
	s_cbranch_execz .LBB6_174
.LBB6_173:
	global_load_dword v0, v[0:1], off offset:4
	s_waitcnt vmcnt(0)
	v_alignbit_b32 v0, v0, v5, 30
	v_and_b32_e32 v11, 7, v0
.LBB6_174:
	s_or_b32 exec_lo, exec_lo, s0
	v_lshrrev_b32_e32 v0, 29, v6
	v_sub_nc_u32_e32 v1, s7, v11
	v_add_nc_u32_e32 v0, v1, v0
	v_cvt_f32_i32_e32 v0, v0
	s_waitcnt vmcnt(0)
	v_cvt_f16_f32_e32 v5, v0
	v_add_co_u32 v0, vcc_lo, v2, s4
	v_add_co_ci_u32_e64 v1, null, s5, v3, vcc_lo
	v_mul_f16_e32 v2, v4, v5
	global_store_short v[0:1], v2, off
.LBB6_175:
	s_endpgm
.LBB6_176:
	s_mov_b32 s4, -1
	s_mov_b32 s8, exec_lo
                                        ; implicit-def: $vgpr15
	v_cmpx_eq_u32_e32 21, v10
	s_cbranch_execz .LBB6_178
; %bb.177:
	global_load_dword v15, v[4:5], off offset:4
	s_xor_b32 s4, exec_lo, -1
	s_waitcnt vmcnt(0)
	v_alignbit_b32 v15, v15, v14, 31
	v_and_b32_e32 v15, 7, v15
.LBB6_178:
	s_or_b32 exec_lo, exec_lo, s8
	s_and_b32 s4, s4, exec_lo
	s_andn2_saveexec_b32 s5, s5
	s_cbranch_execz .LBB6_21
.LBB6_179:
	v_cmp_ne_u32_e64 s1, 10, v10
	s_andn2_b32 s4, s4, exec_lo
	s_mov_b32 s3, exec_lo
	s_and_b32 s1, s1, exec_lo
	s_or_b32 s4, s4, s1
	s_or_b32 exec_lo, exec_lo, s5
	s_and_saveexec_b32 s1, s4
	s_xor_b32 s1, exec_lo, s1
	s_cbranch_execz .LBB6_22
.LBB6_180:
                                        ; implicit-def: $vgpr15
	s_and_saveexec_b32 s4, s0
	s_xor_b32 s4, exec_lo, s4
	s_cbranch_execz .LBB6_186
; %bb.181:
                                        ; implicit-def: $vgpr15
	s_and_saveexec_b32 s5, vcc_lo
	s_xor_b32 s5, exec_lo, s5
	s_cbranch_execz .LBB6_183
; %bb.182:
	s_waitcnt vmcnt(0)
	v_bfe_u32 v15, v14, v9, 3
.LBB6_183:
	s_andn2_saveexec_b32 s5, s5
	s_cbranch_execz .LBB6_185
; %bb.184:
	s_waitcnt vmcnt(0)
	v_bfe_u32 v15, v14, v7, 3
.LBB6_185:
	s_or_b32 exec_lo, exec_lo, s5
.LBB6_186:
	s_andn2_saveexec_b32 s4, s4
	s_cbranch_execz .LBB6_188
; %bb.187:
	s_waitcnt vmcnt(0)
	v_bfe_u32 v15, v14, v8, 3
.LBB6_188:
	s_or_b32 exec_lo, exec_lo, s4
	s_andn2_b32 s3, s3, exec_lo
	s_or_b32 exec_lo, exec_lo, s1
	s_and_saveexec_b32 s1, s3
	s_cbranch_execnz .LBB6_23
	s_branch .LBB6_24
.LBB6_189:
	s_mov_b32 s8, -1
	s_mov_b32 s16, exec_lo
                                        ; implicit-def: $vgpr15
	v_cmpx_eq_u32_e32 21, v10
	s_cbranch_execz .LBB6_191
; %bb.190:
	global_load_dword v15, v[4:5], off offset:4
	s_xor_b32 s8, exec_lo, -1
	s_waitcnt vmcnt(0)
	v_alignbit_b32 v15, v15, v14, 31
	v_and_b32_e32 v15, 7, v15
.LBB6_191:
	s_or_b32 exec_lo, exec_lo, s16
	s_and_b32 s8, s8, exec_lo
	s_andn2_saveexec_b32 s9, s9
	s_cbranch_execz .LBB6_26
.LBB6_192:
	v_cmp_ne_u32_e64 s1, 10, v10
	s_andn2_b32 s8, s8, exec_lo
	s_mov_b32 s3, exec_lo
	s_and_b32 s1, s1, exec_lo
	s_or_b32 s8, s8, s1
	s_or_b32 exec_lo, exec_lo, s9
	s_and_saveexec_b32 s1, s8
	s_xor_b32 s1, exec_lo, s1
	s_cbranch_execz .LBB6_27
.LBB6_193:
                                        ; implicit-def: $vgpr15
	s_and_saveexec_b32 s8, s0
	s_xor_b32 s8, exec_lo, s8
	s_cbranch_execz .LBB6_199
; %bb.194:
                                        ; implicit-def: $vgpr15
	s_and_saveexec_b32 s9, vcc_lo
	s_xor_b32 s9, exec_lo, s9
	s_cbranch_execz .LBB6_196
; %bb.195:
	s_waitcnt vmcnt(0)
	v_bfe_u32 v15, v14, v9, 3
.LBB6_196:
	s_andn2_saveexec_b32 s9, s9
	s_cbranch_execz .LBB6_198
; %bb.197:
	s_waitcnt vmcnt(0)
	v_bfe_u32 v15, v14, v7, 3
.LBB6_198:
	s_or_b32 exec_lo, exec_lo, s9
.LBB6_199:
	s_andn2_saveexec_b32 s8, s8
	s_cbranch_execz .LBB6_201
; %bb.200:
	s_waitcnt vmcnt(0)
	v_bfe_u32 v15, v14, v8, 3
.LBB6_201:
	s_or_b32 exec_lo, exec_lo, s8
	s_andn2_b32 s3, s3, exec_lo
	s_or_b32 exec_lo, exec_lo, s1
	s_and_saveexec_b32 s1, s3
	s_cbranch_execnz .LBB6_28
	s_branch .LBB6_29
.LBB6_202:
	s_mov_b32 s8, -1
	s_mov_b32 s16, exec_lo
                                        ; implicit-def: $vgpr15
	v_cmpx_eq_u32_e32 21, v10
	s_cbranch_execz .LBB6_204
; %bb.203:
	global_load_dword v15, v[4:5], off offset:4
	s_xor_b32 s8, exec_lo, -1
	s_waitcnt vmcnt(0)
	v_alignbit_b32 v15, v15, v14, 31
	v_and_b32_e32 v15, 7, v15
.LBB6_204:
	s_or_b32 exec_lo, exec_lo, s16
	s_and_b32 s8, s8, exec_lo
	s_andn2_saveexec_b32 s9, s9
	s_cbranch_execz .LBB6_31
.LBB6_205:
	v_cmp_ne_u32_e64 s1, 10, v10
	s_andn2_b32 s8, s8, exec_lo
	s_mov_b32 s3, exec_lo
	s_and_b32 s1, s1, exec_lo
	s_or_b32 s8, s8, s1
	s_or_b32 exec_lo, exec_lo, s9
	s_and_saveexec_b32 s1, s8
	s_xor_b32 s1, exec_lo, s1
	s_cbranch_execz .LBB6_32
.LBB6_206:
                                        ; implicit-def: $vgpr15
	s_and_saveexec_b32 s8, s0
	s_xor_b32 s8, exec_lo, s8
	s_cbranch_execz .LBB6_212
; %bb.207:
                                        ; implicit-def: $vgpr15
	s_and_saveexec_b32 s9, vcc_lo
	s_xor_b32 s9, exec_lo, s9
	s_cbranch_execz .LBB6_209
; %bb.208:
	s_waitcnt vmcnt(0)
	v_bfe_u32 v15, v14, v9, 3
.LBB6_209:
	s_andn2_saveexec_b32 s9, s9
	s_cbranch_execz .LBB6_211
; %bb.210:
	s_waitcnt vmcnt(0)
	v_bfe_u32 v15, v14, v7, 3
.LBB6_211:
	s_or_b32 exec_lo, exec_lo, s9
.LBB6_212:
	s_andn2_saveexec_b32 s8, s8
	s_cbranch_execz .LBB6_214
; %bb.213:
	s_waitcnt vmcnt(0)
	v_bfe_u32 v15, v14, v8, 3
.LBB6_214:
	s_or_b32 exec_lo, exec_lo, s8
	s_andn2_b32 s3, s3, exec_lo
	s_or_b32 exec_lo, exec_lo, s1
	s_and_saveexec_b32 s1, s3
	s_cbranch_execnz .LBB6_33
	s_branch .LBB6_34
.LBB6_215:
	s_mov_b32 s8, -1
	s_mov_b32 s16, exec_lo
                                        ; implicit-def: $vgpr15
	v_cmpx_eq_u32_e32 21, v10
	s_cbranch_execz .LBB6_217
; %bb.216:
	global_load_dword v15, v[4:5], off offset:4
	s_xor_b32 s8, exec_lo, -1
	s_waitcnt vmcnt(0)
	v_alignbit_b32 v15, v15, v14, 31
	v_and_b32_e32 v15, 7, v15
.LBB6_217:
	s_or_b32 exec_lo, exec_lo, s16
	s_and_b32 s8, s8, exec_lo
	s_andn2_saveexec_b32 s9, s9
	s_cbranch_execz .LBB6_36
.LBB6_218:
	v_cmp_ne_u32_e64 s1, 10, v10
	s_andn2_b32 s8, s8, exec_lo
	s_mov_b32 s3, exec_lo
	s_and_b32 s1, s1, exec_lo
	s_or_b32 s8, s8, s1
	s_or_b32 exec_lo, exec_lo, s9
	s_and_saveexec_b32 s1, s8
	s_xor_b32 s1, exec_lo, s1
	s_cbranch_execz .LBB6_37
.LBB6_219:
                                        ; implicit-def: $vgpr15
	s_and_saveexec_b32 s8, s0
	s_xor_b32 s8, exec_lo, s8
	s_cbranch_execz .LBB6_225
; %bb.220:
                                        ; implicit-def: $vgpr15
	s_and_saveexec_b32 s9, vcc_lo
	s_xor_b32 s9, exec_lo, s9
	s_cbranch_execz .LBB6_222
; %bb.221:
	s_waitcnt vmcnt(0)
	v_bfe_u32 v15, v14, v9, 3
.LBB6_222:
	s_andn2_saveexec_b32 s9, s9
	s_cbranch_execz .LBB6_224
; %bb.223:
	s_waitcnt vmcnt(0)
	v_bfe_u32 v15, v14, v7, 3
.LBB6_224:
	s_or_b32 exec_lo, exec_lo, s9
.LBB6_225:
	s_andn2_saveexec_b32 s8, s8
	s_cbranch_execz .LBB6_227
; %bb.226:
	s_waitcnt vmcnt(0)
	v_bfe_u32 v15, v14, v8, 3
.LBB6_227:
	s_or_b32 exec_lo, exec_lo, s8
	s_andn2_b32 s3, s3, exec_lo
	s_or_b32 exec_lo, exec_lo, s1
	s_and_saveexec_b32 s1, s3
	s_cbranch_execnz .LBB6_38
	s_branch .LBB6_39
.LBB6_228:
	s_mov_b32 s8, -1
	s_mov_b32 s16, exec_lo
                                        ; implicit-def: $vgpr15
	v_cmpx_eq_u32_e32 21, v10
	s_cbranch_execz .LBB6_230
; %bb.229:
	global_load_dword v15, v[4:5], off offset:4
	s_xor_b32 s8, exec_lo, -1
	s_waitcnt vmcnt(0)
	v_alignbit_b32 v15, v15, v14, 31
	v_and_b32_e32 v15, 7, v15
.LBB6_230:
	s_or_b32 exec_lo, exec_lo, s16
	s_and_b32 s8, s8, exec_lo
	s_andn2_saveexec_b32 s9, s9
	s_cbranch_execz .LBB6_41
.LBB6_231:
	v_cmp_ne_u32_e64 s1, 10, v10
	s_andn2_b32 s8, s8, exec_lo
	s_mov_b32 s3, exec_lo
	s_and_b32 s1, s1, exec_lo
	s_or_b32 s8, s8, s1
	s_or_b32 exec_lo, exec_lo, s9
	s_and_saveexec_b32 s1, s8
	s_xor_b32 s1, exec_lo, s1
	s_cbranch_execz .LBB6_42
.LBB6_232:
                                        ; implicit-def: $vgpr15
	s_and_saveexec_b32 s8, s0
	s_xor_b32 s8, exec_lo, s8
	s_cbranch_execz .LBB6_238
; %bb.233:
                                        ; implicit-def: $vgpr15
	s_and_saveexec_b32 s9, vcc_lo
	s_xor_b32 s9, exec_lo, s9
	s_cbranch_execz .LBB6_235
; %bb.234:
	s_waitcnt vmcnt(0)
	v_bfe_u32 v15, v14, v9, 3
.LBB6_235:
	s_andn2_saveexec_b32 s9, s9
	s_cbranch_execz .LBB6_237
; %bb.236:
	s_waitcnt vmcnt(0)
	v_bfe_u32 v15, v14, v7, 3
.LBB6_237:
	s_or_b32 exec_lo, exec_lo, s9
.LBB6_238:
	s_andn2_saveexec_b32 s8, s8
	s_cbranch_execz .LBB6_240
; %bb.239:
	s_waitcnt vmcnt(0)
	v_bfe_u32 v15, v14, v8, 3
.LBB6_240:
	s_or_b32 exec_lo, exec_lo, s8
	s_andn2_b32 s3, s3, exec_lo
	s_or_b32 exec_lo, exec_lo, s1
	s_and_saveexec_b32 s1, s3
	s_cbranch_execnz .LBB6_43
	s_branch .LBB6_44
.LBB6_241:
	s_mov_b32 s8, -1
	s_mov_b32 s16, exec_lo
                                        ; implicit-def: $vgpr15
	v_cmpx_eq_u32_e32 21, v10
	s_cbranch_execz .LBB6_243
; %bb.242:
	global_load_dword v15, v[4:5], off offset:4
	s_xor_b32 s8, exec_lo, -1
	s_waitcnt vmcnt(0)
	v_alignbit_b32 v15, v15, v14, 31
	v_and_b32_e32 v15, 7, v15
.LBB6_243:
	s_or_b32 exec_lo, exec_lo, s16
	s_and_b32 s8, s8, exec_lo
	s_andn2_saveexec_b32 s9, s9
	s_cbranch_execz .LBB6_46
.LBB6_244:
	v_cmp_ne_u32_e64 s1, 10, v10
	s_andn2_b32 s8, s8, exec_lo
	s_mov_b32 s3, exec_lo
	s_and_b32 s1, s1, exec_lo
	s_or_b32 s8, s8, s1
	s_or_b32 exec_lo, exec_lo, s9
	s_and_saveexec_b32 s1, s8
	s_xor_b32 s1, exec_lo, s1
	s_cbranch_execz .LBB6_47
.LBB6_245:
                                        ; implicit-def: $vgpr15
	s_and_saveexec_b32 s8, s0
	s_xor_b32 s8, exec_lo, s8
	s_cbranch_execz .LBB6_251
; %bb.246:
                                        ; implicit-def: $vgpr15
	s_and_saveexec_b32 s9, vcc_lo
	s_xor_b32 s9, exec_lo, s9
	s_cbranch_execz .LBB6_248
; %bb.247:
	s_waitcnt vmcnt(0)
	v_bfe_u32 v15, v14, v9, 3
.LBB6_248:
	s_andn2_saveexec_b32 s9, s9
	s_cbranch_execz .LBB6_250
; %bb.249:
	s_waitcnt vmcnt(0)
	v_bfe_u32 v15, v14, v7, 3
.LBB6_250:
	s_or_b32 exec_lo, exec_lo, s9
.LBB6_251:
	s_andn2_saveexec_b32 s8, s8
	s_cbranch_execz .LBB6_253
; %bb.252:
	s_waitcnt vmcnt(0)
	v_bfe_u32 v15, v14, v8, 3
.LBB6_253:
	s_or_b32 exec_lo, exec_lo, s8
	s_andn2_b32 s3, s3, exec_lo
	s_or_b32 exec_lo, exec_lo, s1
	s_and_saveexec_b32 s1, s3
	s_cbranch_execnz .LBB6_48
	s_branch .LBB6_49
.LBB6_254:
	s_mov_b32 s8, -1
	s_mov_b32 s16, exec_lo
                                        ; implicit-def: $vgpr15
	v_cmpx_eq_u32_e32 21, v10
	s_cbranch_execz .LBB6_256
; %bb.255:
	global_load_dword v15, v[4:5], off offset:4
	s_xor_b32 s8, exec_lo, -1
	s_waitcnt vmcnt(0)
	v_alignbit_b32 v15, v15, v14, 31
	v_and_b32_e32 v15, 7, v15
.LBB6_256:
	s_or_b32 exec_lo, exec_lo, s16
	s_and_b32 s8, s8, exec_lo
	s_andn2_saveexec_b32 s9, s9
	s_cbranch_execz .LBB6_51
.LBB6_257:
	v_cmp_ne_u32_e64 s1, 10, v10
	s_andn2_b32 s8, s8, exec_lo
	s_mov_b32 s3, exec_lo
	s_and_b32 s1, s1, exec_lo
	s_or_b32 s8, s8, s1
	s_or_b32 exec_lo, exec_lo, s9
	s_and_saveexec_b32 s1, s8
	s_xor_b32 s1, exec_lo, s1
	s_cbranch_execz .LBB6_52
.LBB6_258:
                                        ; implicit-def: $vgpr15
	s_and_saveexec_b32 s8, s0
	s_xor_b32 s8, exec_lo, s8
	s_cbranch_execz .LBB6_264
; %bb.259:
                                        ; implicit-def: $vgpr15
	s_and_saveexec_b32 s9, vcc_lo
	s_xor_b32 s9, exec_lo, s9
	s_cbranch_execz .LBB6_261
; %bb.260:
	s_waitcnt vmcnt(0)
	v_bfe_u32 v15, v14, v9, 3
.LBB6_261:
	s_andn2_saveexec_b32 s9, s9
	s_cbranch_execz .LBB6_263
; %bb.262:
	s_waitcnt vmcnt(0)
	v_bfe_u32 v15, v14, v7, 3
.LBB6_263:
	s_or_b32 exec_lo, exec_lo, s9
.LBB6_264:
	s_andn2_saveexec_b32 s8, s8
	s_cbranch_execz .LBB6_266
; %bb.265:
	s_waitcnt vmcnt(0)
	v_bfe_u32 v15, v14, v8, 3
.LBB6_266:
	s_or_b32 exec_lo, exec_lo, s8
	s_andn2_b32 s3, s3, exec_lo
	s_or_b32 exec_lo, exec_lo, s1
	s_and_saveexec_b32 s1, s3
	s_cbranch_execnz .LBB6_53
	s_branch .LBB6_54
.LBB6_267:
	s_mov_b32 s8, -1
	s_mov_b32 s16, exec_lo
                                        ; implicit-def: $vgpr15
	v_cmpx_eq_u32_e32 21, v10
	s_cbranch_execz .LBB6_269
; %bb.268:
	global_load_dword v15, v[4:5], off offset:4
	s_xor_b32 s8, exec_lo, -1
	s_waitcnt vmcnt(0)
	v_alignbit_b32 v15, v15, v14, 31
	v_and_b32_e32 v15, 7, v15
.LBB6_269:
	s_or_b32 exec_lo, exec_lo, s16
	s_and_b32 s8, s8, exec_lo
	s_andn2_saveexec_b32 s9, s9
	s_cbranch_execz .LBB6_56
.LBB6_270:
	v_cmp_ne_u32_e64 s1, 10, v10
	s_andn2_b32 s8, s8, exec_lo
	s_mov_b32 s3, exec_lo
	s_and_b32 s1, s1, exec_lo
	s_or_b32 s8, s8, s1
	s_or_b32 exec_lo, exec_lo, s9
	s_and_saveexec_b32 s1, s8
	s_xor_b32 s1, exec_lo, s1
	s_cbranch_execz .LBB6_57
.LBB6_271:
                                        ; implicit-def: $vgpr15
	s_and_saveexec_b32 s8, s0
	s_xor_b32 s8, exec_lo, s8
	s_cbranch_execz .LBB6_277
; %bb.272:
                                        ; implicit-def: $vgpr15
	s_and_saveexec_b32 s9, vcc_lo
	s_xor_b32 s9, exec_lo, s9
	s_cbranch_execz .LBB6_274
; %bb.273:
	s_waitcnt vmcnt(0)
	v_bfe_u32 v15, v14, v9, 3
.LBB6_274:
	s_andn2_saveexec_b32 s9, s9
	s_cbranch_execz .LBB6_276
; %bb.275:
	s_waitcnt vmcnt(0)
	v_bfe_u32 v15, v14, v7, 3
.LBB6_276:
	s_or_b32 exec_lo, exec_lo, s9
.LBB6_277:
	s_andn2_saveexec_b32 s8, s8
	s_cbranch_execz .LBB6_279
; %bb.278:
	s_waitcnt vmcnt(0)
	v_bfe_u32 v15, v14, v8, 3
.LBB6_279:
	s_or_b32 exec_lo, exec_lo, s8
	s_andn2_b32 s3, s3, exec_lo
	s_or_b32 exec_lo, exec_lo, s1
	s_and_saveexec_b32 s1, s3
	s_cbranch_execnz .LBB6_58
	s_branch .LBB6_59
.LBB6_280:
	s_mov_b32 s8, -1
	s_mov_b32 s16, exec_lo
                                        ; implicit-def: $vgpr15
	v_cmpx_eq_u32_e32 21, v10
	s_cbranch_execz .LBB6_282
; %bb.281:
	global_load_dword v15, v[4:5], off offset:4
	s_xor_b32 s8, exec_lo, -1
	s_waitcnt vmcnt(0)
	v_alignbit_b32 v15, v15, v14, 31
	v_and_b32_e32 v15, 7, v15
.LBB6_282:
	s_or_b32 exec_lo, exec_lo, s16
	s_and_b32 s8, s8, exec_lo
	s_andn2_saveexec_b32 s9, s9
	s_cbranch_execz .LBB6_61
.LBB6_283:
	v_cmp_ne_u32_e64 s1, 10, v10
	s_andn2_b32 s8, s8, exec_lo
	s_mov_b32 s3, exec_lo
	s_and_b32 s1, s1, exec_lo
	s_or_b32 s8, s8, s1
	s_or_b32 exec_lo, exec_lo, s9
	s_and_saveexec_b32 s1, s8
	s_xor_b32 s1, exec_lo, s1
	s_cbranch_execz .LBB6_62
.LBB6_284:
                                        ; implicit-def: $vgpr15
	s_and_saveexec_b32 s8, s0
	s_xor_b32 s8, exec_lo, s8
	s_cbranch_execz .LBB6_290
; %bb.285:
                                        ; implicit-def: $vgpr15
	s_and_saveexec_b32 s9, vcc_lo
	s_xor_b32 s9, exec_lo, s9
	s_cbranch_execz .LBB6_287
; %bb.286:
	s_waitcnt vmcnt(0)
	v_bfe_u32 v15, v14, v9, 3
.LBB6_287:
	s_andn2_saveexec_b32 s9, s9
	s_cbranch_execz .LBB6_289
; %bb.288:
	s_waitcnt vmcnt(0)
	v_bfe_u32 v15, v14, v7, 3
.LBB6_289:
	s_or_b32 exec_lo, exec_lo, s9
.LBB6_290:
	s_andn2_saveexec_b32 s8, s8
	s_cbranch_execz .LBB6_292
; %bb.291:
	s_waitcnt vmcnt(0)
	v_bfe_u32 v15, v14, v8, 3
.LBB6_292:
	s_or_b32 exec_lo, exec_lo, s8
	s_andn2_b32 s3, s3, exec_lo
	s_or_b32 exec_lo, exec_lo, s1
	s_and_saveexec_b32 s1, s3
	s_cbranch_execnz .LBB6_63
	s_branch .LBB6_64
.LBB6_293:
	s_mov_b32 s8, -1
	s_mov_b32 s16, exec_lo
                                        ; implicit-def: $vgpr15
	v_cmpx_eq_u32_e32 21, v10
	s_cbranch_execz .LBB6_295
; %bb.294:
	global_load_dword v15, v[4:5], off offset:4
	s_xor_b32 s8, exec_lo, -1
	s_waitcnt vmcnt(0)
	v_alignbit_b32 v15, v15, v14, 31
	v_and_b32_e32 v15, 7, v15
.LBB6_295:
	s_or_b32 exec_lo, exec_lo, s16
	s_and_b32 s8, s8, exec_lo
	s_andn2_saveexec_b32 s9, s9
	s_cbranch_execz .LBB6_66
.LBB6_296:
	v_cmp_ne_u32_e64 s1, 10, v10
	s_andn2_b32 s8, s8, exec_lo
	s_mov_b32 s3, exec_lo
	s_and_b32 s1, s1, exec_lo
	s_or_b32 s8, s8, s1
	s_or_b32 exec_lo, exec_lo, s9
	s_and_saveexec_b32 s1, s8
	s_xor_b32 s1, exec_lo, s1
	s_cbranch_execz .LBB6_67
.LBB6_297:
                                        ; implicit-def: $vgpr15
	s_and_saveexec_b32 s8, s0
	s_xor_b32 s8, exec_lo, s8
	s_cbranch_execz .LBB6_303
; %bb.298:
                                        ; implicit-def: $vgpr15
	s_and_saveexec_b32 s9, vcc_lo
	s_xor_b32 s9, exec_lo, s9
	s_cbranch_execz .LBB6_300
; %bb.299:
	s_waitcnt vmcnt(0)
	v_bfe_u32 v15, v14, v9, 3
.LBB6_300:
	s_andn2_saveexec_b32 s9, s9
	s_cbranch_execz .LBB6_302
; %bb.301:
	s_waitcnt vmcnt(0)
	v_bfe_u32 v15, v14, v7, 3
.LBB6_302:
	s_or_b32 exec_lo, exec_lo, s9
.LBB6_303:
	s_andn2_saveexec_b32 s8, s8
	s_cbranch_execz .LBB6_305
; %bb.304:
	s_waitcnt vmcnt(0)
	v_bfe_u32 v15, v14, v8, 3
.LBB6_305:
	s_or_b32 exec_lo, exec_lo, s8
	s_andn2_b32 s3, s3, exec_lo
	s_or_b32 exec_lo, exec_lo, s1
	s_and_saveexec_b32 s1, s3
	s_cbranch_execnz .LBB6_68
	s_branch .LBB6_69
.LBB6_306:
	s_mov_b32 s8, -1
	s_mov_b32 s16, exec_lo
                                        ; implicit-def: $vgpr14
	v_cmpx_eq_u32_e32 21, v10
	s_cbranch_execz .LBB6_308
; %bb.307:
	global_load_dword v14, v[4:5], off offset:4
	s_xor_b32 s8, exec_lo, -1
	s_waitcnt vmcnt(0)
	v_alignbit_b32 v14, v14, v13, 31
	v_and_b32_e32 v14, 7, v14
.LBB6_308:
	s_or_b32 exec_lo, exec_lo, s16
	s_and_b32 s8, s8, exec_lo
	s_andn2_saveexec_b32 s9, s9
	s_cbranch_execz .LBB6_71
.LBB6_309:
	v_cmp_ne_u32_e64 s1, 10, v10
	s_andn2_b32 s8, s8, exec_lo
	s_mov_b32 s3, exec_lo
	s_and_b32 s1, s1, exec_lo
	s_or_b32 s8, s8, s1
	s_or_b32 exec_lo, exec_lo, s9
	s_and_saveexec_b32 s1, s8
	s_xor_b32 s1, exec_lo, s1
	s_cbranch_execz .LBB6_72
.LBB6_310:
                                        ; implicit-def: $vgpr14
	s_and_saveexec_b32 s8, s0
	s_xor_b32 s8, exec_lo, s8
	s_cbranch_execz .LBB6_316
; %bb.311:
                                        ; implicit-def: $vgpr14
	s_and_saveexec_b32 s9, vcc_lo
	s_xor_b32 s9, exec_lo, s9
	s_cbranch_execz .LBB6_313
; %bb.312:
	s_waitcnt vmcnt(0)
	v_bfe_u32 v14, v13, v9, 3
.LBB6_313:
	s_andn2_saveexec_b32 s9, s9
	s_cbranch_execz .LBB6_315
; %bb.314:
	s_waitcnt vmcnt(0)
	v_bfe_u32 v14, v13, v7, 3
.LBB6_315:
	s_or_b32 exec_lo, exec_lo, s9
.LBB6_316:
	s_andn2_saveexec_b32 s8, s8
	s_cbranch_execz .LBB6_318
; %bb.317:
	s_waitcnt vmcnt(0)
	v_bfe_u32 v14, v13, v8, 3
.LBB6_318:
	s_or_b32 exec_lo, exec_lo, s8
	s_andn2_b32 s3, s3, exec_lo
	s_or_b32 exec_lo, exec_lo, s1
	s_and_saveexec_b32 s1, s3
	s_cbranch_execnz .LBB6_73
	s_branch .LBB6_74
.LBB6_319:
	s_mov_b32 s8, -1
	s_mov_b32 s16, exec_lo
                                        ; implicit-def: $vgpr14
	v_cmpx_eq_u32_e32 21, v10
	s_cbranch_execz .LBB6_321
; %bb.320:
	global_load_dword v14, v[4:5], off offset:4
	s_xor_b32 s8, exec_lo, -1
	s_waitcnt vmcnt(0)
	v_alignbit_b32 v14, v14, v13, 31
	v_and_b32_e32 v14, 7, v14
.LBB6_321:
	s_or_b32 exec_lo, exec_lo, s16
	s_and_b32 s8, s8, exec_lo
	s_andn2_saveexec_b32 s9, s9
	s_cbranch_execz .LBB6_76
.LBB6_322:
	v_cmp_ne_u32_e64 s1, 10, v10
	s_andn2_b32 s8, s8, exec_lo
	s_mov_b32 s3, exec_lo
	s_and_b32 s1, s1, exec_lo
	s_or_b32 s8, s8, s1
	s_or_b32 exec_lo, exec_lo, s9
	s_and_saveexec_b32 s1, s8
	s_xor_b32 s1, exec_lo, s1
	s_cbranch_execz .LBB6_77
.LBB6_323:
                                        ; implicit-def: $vgpr14
	s_and_saveexec_b32 s8, s0
	s_xor_b32 s8, exec_lo, s8
	s_cbranch_execz .LBB6_329
; %bb.324:
                                        ; implicit-def: $vgpr14
	s_and_saveexec_b32 s9, vcc_lo
	s_xor_b32 s9, exec_lo, s9
	s_cbranch_execz .LBB6_326
; %bb.325:
	s_waitcnt vmcnt(0)
	v_bfe_u32 v14, v13, v9, 3
.LBB6_326:
	s_andn2_saveexec_b32 s9, s9
	s_cbranch_execz .LBB6_328
; %bb.327:
	s_waitcnt vmcnt(0)
	v_bfe_u32 v14, v13, v7, 3
.LBB6_328:
	s_or_b32 exec_lo, exec_lo, s9
.LBB6_329:
	s_andn2_saveexec_b32 s8, s8
	s_cbranch_execz .LBB6_331
; %bb.330:
	s_waitcnt vmcnt(0)
	v_bfe_u32 v14, v13, v8, 3
.LBB6_331:
	s_or_b32 exec_lo, exec_lo, s8
	s_andn2_b32 s3, s3, exec_lo
	s_or_b32 exec_lo, exec_lo, s1
	s_and_saveexec_b32 s1, s3
	s_cbranch_execnz .LBB6_78
	s_branch .LBB6_79
.LBB6_332:
	s_mov_b32 s8, -1
	s_mov_b32 s16, exec_lo
                                        ; implicit-def: $vgpr14
	v_cmpx_eq_u32_e32 21, v10
	s_cbranch_execz .LBB6_334
; %bb.333:
	global_load_dword v14, v[4:5], off offset:4
	s_xor_b32 s8, exec_lo, -1
	s_waitcnt vmcnt(0)
	v_alignbit_b32 v14, v14, v13, 31
	v_and_b32_e32 v14, 7, v14
.LBB6_334:
	s_or_b32 exec_lo, exec_lo, s16
	s_and_b32 s8, s8, exec_lo
	s_andn2_saveexec_b32 s9, s9
	s_cbranch_execz .LBB6_81
.LBB6_335:
	v_cmp_ne_u32_e64 s1, 10, v10
	s_andn2_b32 s8, s8, exec_lo
	s_mov_b32 s3, exec_lo
	s_and_b32 s1, s1, exec_lo
	s_or_b32 s8, s8, s1
	s_or_b32 exec_lo, exec_lo, s9
	s_and_saveexec_b32 s1, s8
	s_xor_b32 s1, exec_lo, s1
	s_cbranch_execz .LBB6_82
.LBB6_336:
                                        ; implicit-def: $vgpr14
	s_and_saveexec_b32 s8, s0
	s_xor_b32 s8, exec_lo, s8
	s_cbranch_execz .LBB6_342
; %bb.337:
                                        ; implicit-def: $vgpr14
	s_and_saveexec_b32 s9, vcc_lo
	s_xor_b32 s9, exec_lo, s9
	s_cbranch_execz .LBB6_339
; %bb.338:
	s_waitcnt vmcnt(0)
	v_bfe_u32 v14, v13, v9, 3
.LBB6_339:
	s_andn2_saveexec_b32 s9, s9
	s_cbranch_execz .LBB6_341
; %bb.340:
	s_waitcnt vmcnt(0)
	v_bfe_u32 v14, v13, v7, 3
.LBB6_341:
	s_or_b32 exec_lo, exec_lo, s9
.LBB6_342:
	s_andn2_saveexec_b32 s8, s8
	s_cbranch_execz .LBB6_344
; %bb.343:
	s_waitcnt vmcnt(0)
	v_bfe_u32 v14, v13, v8, 3
.LBB6_344:
	s_or_b32 exec_lo, exec_lo, s8
	s_andn2_b32 s3, s3, exec_lo
	s_or_b32 exec_lo, exec_lo, s1
	s_and_saveexec_b32 s1, s3
	s_cbranch_execnz .LBB6_83
	s_branch .LBB6_84
.LBB6_345:
	s_mov_b32 s8, -1
	s_mov_b32 s16, exec_lo
                                        ; implicit-def: $vgpr14
	v_cmpx_eq_u32_e32 21, v10
	s_cbranch_execz .LBB6_347
; %bb.346:
	global_load_dword v14, v[4:5], off offset:4
	s_xor_b32 s8, exec_lo, -1
	s_waitcnt vmcnt(0)
	v_alignbit_b32 v14, v14, v13, 31
	v_and_b32_e32 v14, 7, v14
.LBB6_347:
	s_or_b32 exec_lo, exec_lo, s16
	s_and_b32 s8, s8, exec_lo
	s_andn2_saveexec_b32 s9, s9
	s_cbranch_execz .LBB6_86
.LBB6_348:
	v_cmp_ne_u32_e64 s1, 10, v10
	s_andn2_b32 s8, s8, exec_lo
	s_mov_b32 s3, exec_lo
	s_and_b32 s1, s1, exec_lo
	s_or_b32 s8, s8, s1
	s_or_b32 exec_lo, exec_lo, s9
	s_and_saveexec_b32 s1, s8
	s_xor_b32 s1, exec_lo, s1
	s_cbranch_execz .LBB6_87
.LBB6_349:
                                        ; implicit-def: $vgpr14
	s_and_saveexec_b32 s8, s0
	s_xor_b32 s8, exec_lo, s8
	s_cbranch_execz .LBB6_355
; %bb.350:
                                        ; implicit-def: $vgpr14
	s_and_saveexec_b32 s9, vcc_lo
	s_xor_b32 s9, exec_lo, s9
	s_cbranch_execz .LBB6_352
; %bb.351:
	s_waitcnt vmcnt(0)
	v_bfe_u32 v14, v13, v9, 3
.LBB6_352:
	s_andn2_saveexec_b32 s9, s9
	s_cbranch_execz .LBB6_354
; %bb.353:
	s_waitcnt vmcnt(0)
	v_bfe_u32 v14, v13, v7, 3
.LBB6_354:
	s_or_b32 exec_lo, exec_lo, s9
.LBB6_355:
	s_andn2_saveexec_b32 s8, s8
	s_cbranch_execz .LBB6_357
; %bb.356:
	s_waitcnt vmcnt(0)
	v_bfe_u32 v14, v13, v8, 3
.LBB6_357:
	s_or_b32 exec_lo, exec_lo, s8
	s_andn2_b32 s3, s3, exec_lo
	s_or_b32 exec_lo, exec_lo, s1
	s_and_saveexec_b32 s1, s3
	s_cbranch_execnz .LBB6_88
	s_branch .LBB6_89
.LBB6_358:
	s_mov_b32 s8, -1
	s_mov_b32 s16, exec_lo
                                        ; implicit-def: $vgpr14
	v_cmpx_eq_u32_e32 21, v10
	s_cbranch_execz .LBB6_360
; %bb.359:
	global_load_dword v14, v[4:5], off offset:4
	s_xor_b32 s8, exec_lo, -1
	s_waitcnt vmcnt(0)
	v_alignbit_b32 v14, v14, v13, 31
	v_and_b32_e32 v14, 7, v14
.LBB6_360:
	s_or_b32 exec_lo, exec_lo, s16
	s_and_b32 s8, s8, exec_lo
	s_andn2_saveexec_b32 s9, s9
	s_cbranch_execz .LBB6_91
.LBB6_361:
	v_cmp_ne_u32_e64 s1, 10, v10
	s_andn2_b32 s8, s8, exec_lo
	s_mov_b32 s3, exec_lo
	s_and_b32 s1, s1, exec_lo
	s_or_b32 s8, s8, s1
	s_or_b32 exec_lo, exec_lo, s9
	s_and_saveexec_b32 s1, s8
	s_xor_b32 s1, exec_lo, s1
	s_cbranch_execz .LBB6_92
.LBB6_362:
                                        ; implicit-def: $vgpr14
	s_and_saveexec_b32 s8, s0
	s_xor_b32 s8, exec_lo, s8
	s_cbranch_execz .LBB6_368
; %bb.363:
                                        ; implicit-def: $vgpr14
	s_and_saveexec_b32 s9, vcc_lo
	s_xor_b32 s9, exec_lo, s9
	s_cbranch_execz .LBB6_365
; %bb.364:
	s_waitcnt vmcnt(0)
	v_bfe_u32 v14, v13, v9, 3
.LBB6_365:
	s_andn2_saveexec_b32 s9, s9
	s_cbranch_execz .LBB6_367
; %bb.366:
	s_waitcnt vmcnt(0)
	v_bfe_u32 v14, v13, v7, 3
.LBB6_367:
	s_or_b32 exec_lo, exec_lo, s9
.LBB6_368:
	s_andn2_saveexec_b32 s8, s8
	s_cbranch_execz .LBB6_370
; %bb.369:
	s_waitcnt vmcnt(0)
	v_bfe_u32 v14, v13, v8, 3
.LBB6_370:
	s_or_b32 exec_lo, exec_lo, s8
	s_andn2_b32 s3, s3, exec_lo
	s_or_b32 exec_lo, exec_lo, s1
	s_and_saveexec_b32 s1, s3
	s_cbranch_execnz .LBB6_93
	s_branch .LBB6_94
.LBB6_371:
	s_mov_b32 s8, -1
	s_mov_b32 s16, exec_lo
                                        ; implicit-def: $vgpr14
	v_cmpx_eq_u32_e32 21, v10
	s_cbranch_execz .LBB6_373
; %bb.372:
	global_load_dword v14, v[4:5], off offset:4
	s_xor_b32 s8, exec_lo, -1
	s_waitcnt vmcnt(0)
	v_alignbit_b32 v14, v14, v13, 31
	v_and_b32_e32 v14, 7, v14
.LBB6_373:
	s_or_b32 exec_lo, exec_lo, s16
	s_and_b32 s8, s8, exec_lo
	s_andn2_saveexec_b32 s9, s9
	s_cbranch_execz .LBB6_96
.LBB6_374:
	v_cmp_ne_u32_e64 s1, 10, v10
	s_andn2_b32 s8, s8, exec_lo
	s_mov_b32 s3, exec_lo
	s_and_b32 s1, s1, exec_lo
	s_or_b32 s8, s8, s1
	s_or_b32 exec_lo, exec_lo, s9
	s_and_saveexec_b32 s1, s8
	s_xor_b32 s1, exec_lo, s1
	s_cbranch_execz .LBB6_97
.LBB6_375:
                                        ; implicit-def: $vgpr14
	s_and_saveexec_b32 s8, s0
	s_xor_b32 s8, exec_lo, s8
	s_cbranch_execz .LBB6_381
; %bb.376:
                                        ; implicit-def: $vgpr14
	s_and_saveexec_b32 s9, vcc_lo
	s_xor_b32 s9, exec_lo, s9
	s_cbranch_execz .LBB6_378
; %bb.377:
	s_waitcnt vmcnt(0)
	v_bfe_u32 v14, v13, v9, 3
.LBB6_378:
	s_andn2_saveexec_b32 s9, s9
	s_cbranch_execz .LBB6_380
; %bb.379:
	s_waitcnt vmcnt(0)
	v_bfe_u32 v14, v13, v7, 3
.LBB6_380:
	s_or_b32 exec_lo, exec_lo, s9
.LBB6_381:
	s_andn2_saveexec_b32 s8, s8
	s_cbranch_execz .LBB6_383
; %bb.382:
	s_waitcnt vmcnt(0)
	v_bfe_u32 v14, v13, v8, 3
.LBB6_383:
	s_or_b32 exec_lo, exec_lo, s8
	s_andn2_b32 s3, s3, exec_lo
	s_or_b32 exec_lo, exec_lo, s1
	s_and_saveexec_b32 s1, s3
	s_cbranch_execnz .LBB6_98
	s_branch .LBB6_99
.LBB6_384:
	s_mov_b32 s8, -1
	s_mov_b32 s16, exec_lo
                                        ; implicit-def: $vgpr14
	v_cmpx_eq_u32_e32 21, v10
	s_cbranch_execz .LBB6_386
; %bb.385:
	global_load_dword v14, v[4:5], off offset:4
	s_xor_b32 s8, exec_lo, -1
	s_waitcnt vmcnt(0)
	v_alignbit_b32 v14, v14, v13, 31
	v_and_b32_e32 v14, 7, v14
.LBB6_386:
	s_or_b32 exec_lo, exec_lo, s16
	s_and_b32 s8, s8, exec_lo
	s_andn2_saveexec_b32 s9, s9
	s_cbranch_execz .LBB6_101
.LBB6_387:
	v_cmp_ne_u32_e64 s1, 10, v10
	s_andn2_b32 s8, s8, exec_lo
	s_mov_b32 s3, exec_lo
	s_and_b32 s1, s1, exec_lo
	s_or_b32 s8, s8, s1
	s_or_b32 exec_lo, exec_lo, s9
	s_and_saveexec_b32 s1, s8
	s_xor_b32 s1, exec_lo, s1
	s_cbranch_execz .LBB6_102
.LBB6_388:
                                        ; implicit-def: $vgpr14
	s_and_saveexec_b32 s8, s0
	s_xor_b32 s8, exec_lo, s8
	s_cbranch_execz .LBB6_394
; %bb.389:
                                        ; implicit-def: $vgpr14
	s_and_saveexec_b32 s9, vcc_lo
	s_xor_b32 s9, exec_lo, s9
	s_cbranch_execz .LBB6_391
; %bb.390:
	s_waitcnt vmcnt(0)
	v_bfe_u32 v14, v13, v9, 3
.LBB6_391:
	s_andn2_saveexec_b32 s9, s9
	s_cbranch_execz .LBB6_393
; %bb.392:
	s_waitcnt vmcnt(0)
	v_bfe_u32 v14, v13, v7, 3
.LBB6_393:
	s_or_b32 exec_lo, exec_lo, s9
.LBB6_394:
	s_andn2_saveexec_b32 s8, s8
	s_cbranch_execz .LBB6_396
; %bb.395:
	s_waitcnt vmcnt(0)
	v_bfe_u32 v14, v13, v8, 3
.LBB6_396:
	s_or_b32 exec_lo, exec_lo, s8
	s_andn2_b32 s3, s3, exec_lo
	s_or_b32 exec_lo, exec_lo, s1
	s_and_saveexec_b32 s1, s3
	s_cbranch_execnz .LBB6_103
	s_branch .LBB6_104
.LBB6_397:
	s_mov_b32 s8, -1
	s_mov_b32 s16, exec_lo
                                        ; implicit-def: $vgpr14
	v_cmpx_eq_u32_e32 21, v10
	s_cbranch_execz .LBB6_399
; %bb.398:
	global_load_dword v14, v[4:5], off offset:4
	s_xor_b32 s8, exec_lo, -1
	s_waitcnt vmcnt(0)
	v_alignbit_b32 v14, v14, v13, 31
	v_and_b32_e32 v14, 7, v14
.LBB6_399:
	s_or_b32 exec_lo, exec_lo, s16
	s_and_b32 s8, s8, exec_lo
	s_andn2_saveexec_b32 s9, s9
	s_cbranch_execz .LBB6_106
.LBB6_400:
	v_cmp_ne_u32_e64 s1, 10, v10
	s_andn2_b32 s8, s8, exec_lo
	s_mov_b32 s3, exec_lo
	s_and_b32 s1, s1, exec_lo
	s_or_b32 s8, s8, s1
	s_or_b32 exec_lo, exec_lo, s9
	s_and_saveexec_b32 s1, s8
	s_xor_b32 s1, exec_lo, s1
	s_cbranch_execz .LBB6_107
.LBB6_401:
                                        ; implicit-def: $vgpr14
	s_and_saveexec_b32 s8, s0
	s_xor_b32 s8, exec_lo, s8
	s_cbranch_execz .LBB6_407
; %bb.402:
                                        ; implicit-def: $vgpr14
	s_and_saveexec_b32 s9, vcc_lo
	s_xor_b32 s9, exec_lo, s9
	s_cbranch_execz .LBB6_404
; %bb.403:
	s_waitcnt vmcnt(0)
	v_bfe_u32 v14, v13, v9, 3
.LBB6_404:
	s_andn2_saveexec_b32 s9, s9
	s_cbranch_execz .LBB6_406
; %bb.405:
	s_waitcnt vmcnt(0)
	v_bfe_u32 v14, v13, v7, 3
.LBB6_406:
	s_or_b32 exec_lo, exec_lo, s9
.LBB6_407:
	s_andn2_saveexec_b32 s8, s8
	s_cbranch_execz .LBB6_409
; %bb.408:
	s_waitcnt vmcnt(0)
	v_bfe_u32 v14, v13, v8, 3
.LBB6_409:
	s_or_b32 exec_lo, exec_lo, s8
	s_andn2_b32 s3, s3, exec_lo
	s_or_b32 exec_lo, exec_lo, s1
	s_and_saveexec_b32 s1, s3
	s_cbranch_execnz .LBB6_108
	s_branch .LBB6_109
.LBB6_410:
	s_mov_b32 s8, -1
	s_mov_b32 s16, exec_lo
                                        ; implicit-def: $vgpr14
	v_cmpx_eq_u32_e32 21, v10
	s_cbranch_execz .LBB6_412
; %bb.411:
	global_load_dword v14, v[4:5], off offset:4
	s_xor_b32 s8, exec_lo, -1
	s_waitcnt vmcnt(0)
	v_alignbit_b32 v14, v14, v13, 31
	v_and_b32_e32 v14, 7, v14
.LBB6_412:
	s_or_b32 exec_lo, exec_lo, s16
	s_and_b32 s8, s8, exec_lo
	s_andn2_saveexec_b32 s9, s9
	s_cbranch_execz .LBB6_111
.LBB6_413:
	v_cmp_ne_u32_e64 s1, 10, v10
	s_andn2_b32 s8, s8, exec_lo
	s_mov_b32 s3, exec_lo
	s_and_b32 s1, s1, exec_lo
	s_or_b32 s8, s8, s1
	s_or_b32 exec_lo, exec_lo, s9
	s_and_saveexec_b32 s1, s8
	s_xor_b32 s1, exec_lo, s1
	s_cbranch_execz .LBB6_112
.LBB6_414:
                                        ; implicit-def: $vgpr14
	s_and_saveexec_b32 s8, s0
	s_xor_b32 s8, exec_lo, s8
	s_cbranch_execz .LBB6_420
; %bb.415:
                                        ; implicit-def: $vgpr14
	s_and_saveexec_b32 s9, vcc_lo
	s_xor_b32 s9, exec_lo, s9
	s_cbranch_execz .LBB6_417
; %bb.416:
	s_waitcnt vmcnt(0)
	v_bfe_u32 v14, v13, v9, 3
.LBB6_417:
	s_andn2_saveexec_b32 s9, s9
	s_cbranch_execz .LBB6_419
; %bb.418:
	s_waitcnt vmcnt(0)
	v_bfe_u32 v14, v13, v7, 3
.LBB6_419:
	s_or_b32 exec_lo, exec_lo, s9
.LBB6_420:
	s_andn2_saveexec_b32 s8, s8
	s_cbranch_execz .LBB6_422
; %bb.421:
	s_waitcnt vmcnt(0)
	v_bfe_u32 v14, v13, v8, 3
.LBB6_422:
	s_or_b32 exec_lo, exec_lo, s8
	s_andn2_b32 s3, s3, exec_lo
	s_or_b32 exec_lo, exec_lo, s1
	s_and_saveexec_b32 s1, s3
	s_cbranch_execnz .LBB6_113
	s_branch .LBB6_114
.LBB6_423:
	s_mov_b32 s8, -1
	s_mov_b32 s16, exec_lo
                                        ; implicit-def: $vgpr14
	v_cmpx_eq_u32_e32 21, v10
	s_cbranch_execz .LBB6_425
; %bb.424:
	global_load_dword v14, v[4:5], off offset:4
	s_xor_b32 s8, exec_lo, -1
	s_waitcnt vmcnt(0)
	v_alignbit_b32 v14, v14, v13, 31
	v_and_b32_e32 v14, 7, v14
.LBB6_425:
	s_or_b32 exec_lo, exec_lo, s16
	s_and_b32 s8, s8, exec_lo
	s_andn2_saveexec_b32 s9, s9
	s_cbranch_execz .LBB6_116
.LBB6_426:
	v_cmp_ne_u32_e64 s1, 10, v10
	s_andn2_b32 s8, s8, exec_lo
	s_mov_b32 s3, exec_lo
	s_and_b32 s1, s1, exec_lo
	s_or_b32 s8, s8, s1
	s_or_b32 exec_lo, exec_lo, s9
	s_and_saveexec_b32 s1, s8
	s_xor_b32 s1, exec_lo, s1
	s_cbranch_execz .LBB6_117
.LBB6_427:
                                        ; implicit-def: $vgpr14
	s_and_saveexec_b32 s8, s0
	s_xor_b32 s8, exec_lo, s8
	s_cbranch_execz .LBB6_433
; %bb.428:
                                        ; implicit-def: $vgpr14
	s_and_saveexec_b32 s9, vcc_lo
	s_xor_b32 s9, exec_lo, s9
	s_cbranch_execz .LBB6_430
; %bb.429:
	s_waitcnt vmcnt(0)
	v_bfe_u32 v14, v13, v9, 3
.LBB6_430:
	s_andn2_saveexec_b32 s9, s9
	s_cbranch_execz .LBB6_432
; %bb.431:
	s_waitcnt vmcnt(0)
	v_bfe_u32 v14, v13, v7, 3
.LBB6_432:
	s_or_b32 exec_lo, exec_lo, s9
.LBB6_433:
	s_andn2_saveexec_b32 s8, s8
	s_cbranch_execz .LBB6_435
; %bb.434:
	s_waitcnt vmcnt(0)
	v_bfe_u32 v14, v13, v8, 3
.LBB6_435:
	s_or_b32 exec_lo, exec_lo, s8
	s_andn2_b32 s3, s3, exec_lo
	s_or_b32 exec_lo, exec_lo, s1
	s_and_saveexec_b32 s1, s3
	s_cbranch_execnz .LBB6_118
	s_branch .LBB6_119
.LBB6_436:
	s_mov_b32 s8, -1
	s_mov_b32 s16, exec_lo
                                        ; implicit-def: $vgpr14
	v_cmpx_eq_u32_e32 21, v10
	s_cbranch_execz .LBB6_438
; %bb.437:
	global_load_dword v14, v[4:5], off offset:4
	s_xor_b32 s8, exec_lo, -1
	s_waitcnt vmcnt(0)
	v_alignbit_b32 v14, v14, v13, 31
	v_and_b32_e32 v14, 7, v14
.LBB6_438:
	s_or_b32 exec_lo, exec_lo, s16
	s_and_b32 s8, s8, exec_lo
	s_andn2_saveexec_b32 s9, s9
	s_cbranch_execz .LBB6_121
.LBB6_439:
	v_cmp_ne_u32_e64 s1, 10, v10
	s_andn2_b32 s8, s8, exec_lo
	s_mov_b32 s3, exec_lo
	s_and_b32 s1, s1, exec_lo
	s_or_b32 s8, s8, s1
	s_or_b32 exec_lo, exec_lo, s9
	s_and_saveexec_b32 s1, s8
	s_xor_b32 s1, exec_lo, s1
	s_cbranch_execz .LBB6_122
.LBB6_440:
                                        ; implicit-def: $vgpr14
	s_and_saveexec_b32 s8, s0
	s_xor_b32 s8, exec_lo, s8
	s_cbranch_execz .LBB6_446
; %bb.441:
                                        ; implicit-def: $vgpr14
	s_and_saveexec_b32 s9, vcc_lo
	s_xor_b32 s9, exec_lo, s9
	s_cbranch_execz .LBB6_443
; %bb.442:
	s_waitcnt vmcnt(0)
	v_bfe_u32 v14, v13, v9, 3
.LBB6_443:
	s_andn2_saveexec_b32 s9, s9
	s_cbranch_execz .LBB6_445
; %bb.444:
	s_waitcnt vmcnt(0)
	v_bfe_u32 v14, v13, v7, 3
.LBB6_445:
	s_or_b32 exec_lo, exec_lo, s9
.LBB6_446:
	s_andn2_saveexec_b32 s8, s8
	s_cbranch_execz .LBB6_448
; %bb.447:
	s_waitcnt vmcnt(0)
	v_bfe_u32 v14, v13, v8, 3
.LBB6_448:
	s_or_b32 exec_lo, exec_lo, s8
	s_andn2_b32 s3, s3, exec_lo
	s_or_b32 exec_lo, exec_lo, s1
	s_and_saveexec_b32 s1, s3
	s_cbranch_execnz .LBB6_123
	s_branch .LBB6_124
.LBB6_449:
	s_mov_b32 s8, -1
	s_mov_b32 s16, exec_lo
                                        ; implicit-def: $vgpr13
	v_cmpx_eq_u32_e32 21, v10
	s_cbranch_execz .LBB6_451
; %bb.450:
	global_load_dword v13, v[4:5], off offset:4
	s_xor_b32 s8, exec_lo, -1
	s_waitcnt vmcnt(0)
	v_alignbit_b32 v13, v13, v12, 31
	v_and_b32_e32 v13, 7, v13
.LBB6_451:
	s_or_b32 exec_lo, exec_lo, s16
	s_and_b32 s8, s8, exec_lo
	s_andn2_saveexec_b32 s9, s9
	s_cbranch_execz .LBB6_126
.LBB6_452:
	v_cmp_ne_u32_e64 s1, 10, v10
	s_andn2_b32 s8, s8, exec_lo
	s_mov_b32 s3, exec_lo
	s_and_b32 s1, s1, exec_lo
	s_or_b32 s8, s8, s1
	s_or_b32 exec_lo, exec_lo, s9
	s_and_saveexec_b32 s1, s8
	s_xor_b32 s1, exec_lo, s1
	s_cbranch_execz .LBB6_127
.LBB6_453:
                                        ; implicit-def: $vgpr13
	s_and_saveexec_b32 s8, s0
	s_xor_b32 s8, exec_lo, s8
	s_cbranch_execz .LBB6_459
; %bb.454:
                                        ; implicit-def: $vgpr13
	s_and_saveexec_b32 s9, vcc_lo
	s_xor_b32 s9, exec_lo, s9
	s_cbranch_execz .LBB6_456
; %bb.455:
	s_waitcnt vmcnt(0)
	v_bfe_u32 v13, v12, v9, 3
.LBB6_456:
	s_andn2_saveexec_b32 s9, s9
	s_cbranch_execz .LBB6_458
; %bb.457:
	s_waitcnt vmcnt(0)
	v_bfe_u32 v13, v12, v7, 3
.LBB6_458:
	s_or_b32 exec_lo, exec_lo, s9
.LBB6_459:
	s_andn2_saveexec_b32 s8, s8
	s_cbranch_execz .LBB6_461
; %bb.460:
	s_waitcnt vmcnt(0)
	v_bfe_u32 v13, v12, v8, 3
.LBB6_461:
	s_or_b32 exec_lo, exec_lo, s8
	s_andn2_b32 s3, s3, exec_lo
	s_or_b32 exec_lo, exec_lo, s1
	s_and_saveexec_b32 s1, s3
	s_cbranch_execnz .LBB6_128
	s_branch .LBB6_129
.LBB6_462:
	s_mov_b32 s8, -1
	s_mov_b32 s16, exec_lo
                                        ; implicit-def: $vgpr13
	v_cmpx_eq_u32_e32 21, v10
	s_cbranch_execz .LBB6_464
; %bb.463:
	global_load_dword v13, v[4:5], off offset:4
	s_xor_b32 s8, exec_lo, -1
	s_waitcnt vmcnt(0)
	v_alignbit_b32 v13, v13, v12, 31
	v_and_b32_e32 v13, 7, v13
.LBB6_464:
	s_or_b32 exec_lo, exec_lo, s16
	s_and_b32 s8, s8, exec_lo
	s_andn2_saveexec_b32 s9, s9
	s_cbranch_execz .LBB6_131
.LBB6_465:
	v_cmp_ne_u32_e64 s1, 10, v10
	s_andn2_b32 s8, s8, exec_lo
	s_mov_b32 s3, exec_lo
	s_and_b32 s1, s1, exec_lo
	s_or_b32 s8, s8, s1
	s_or_b32 exec_lo, exec_lo, s9
	s_and_saveexec_b32 s1, s8
	s_xor_b32 s1, exec_lo, s1
	s_cbranch_execz .LBB6_132
.LBB6_466:
                                        ; implicit-def: $vgpr13
	s_and_saveexec_b32 s8, s0
	s_xor_b32 s8, exec_lo, s8
	s_cbranch_execz .LBB6_472
; %bb.467:
                                        ; implicit-def: $vgpr13
	s_and_saveexec_b32 s9, vcc_lo
	s_xor_b32 s9, exec_lo, s9
	s_cbranch_execz .LBB6_469
; %bb.468:
	s_waitcnt vmcnt(0)
	v_bfe_u32 v13, v12, v9, 3
.LBB6_469:
	s_andn2_saveexec_b32 s9, s9
	s_cbranch_execz .LBB6_471
; %bb.470:
	s_waitcnt vmcnt(0)
	v_bfe_u32 v13, v12, v7, 3
.LBB6_471:
	s_or_b32 exec_lo, exec_lo, s9
.LBB6_472:
	s_andn2_saveexec_b32 s8, s8
	s_cbranch_execz .LBB6_474
; %bb.473:
	s_waitcnt vmcnt(0)
	v_bfe_u32 v13, v12, v8, 3
.LBB6_474:
	s_or_b32 exec_lo, exec_lo, s8
	s_andn2_b32 s3, s3, exec_lo
	s_or_b32 exec_lo, exec_lo, s1
	s_and_saveexec_b32 s1, s3
	s_cbranch_execnz .LBB6_133
	s_branch .LBB6_134
.LBB6_475:
	s_mov_b32 s8, -1
	s_mov_b32 s16, exec_lo
                                        ; implicit-def: $vgpr13
	v_cmpx_eq_u32_e32 21, v10
	s_cbranch_execz .LBB6_477
; %bb.476:
	global_load_dword v13, v[4:5], off offset:4
	s_xor_b32 s8, exec_lo, -1
	s_waitcnt vmcnt(0)
	v_alignbit_b32 v13, v13, v12, 31
	v_and_b32_e32 v13, 7, v13
.LBB6_477:
	s_or_b32 exec_lo, exec_lo, s16
	s_and_b32 s8, s8, exec_lo
	s_andn2_saveexec_b32 s9, s9
	s_cbranch_execz .LBB6_136
.LBB6_478:
	v_cmp_ne_u32_e64 s1, 10, v10
	s_andn2_b32 s8, s8, exec_lo
	s_mov_b32 s3, exec_lo
	s_and_b32 s1, s1, exec_lo
	s_or_b32 s8, s8, s1
	s_or_b32 exec_lo, exec_lo, s9
	s_and_saveexec_b32 s1, s8
	s_xor_b32 s1, exec_lo, s1
	s_cbranch_execz .LBB6_137
.LBB6_479:
                                        ; implicit-def: $vgpr13
	s_and_saveexec_b32 s8, s0
	s_xor_b32 s8, exec_lo, s8
	s_cbranch_execz .LBB6_485
; %bb.480:
                                        ; implicit-def: $vgpr13
	s_and_saveexec_b32 s9, vcc_lo
	s_xor_b32 s9, exec_lo, s9
	s_cbranch_execz .LBB6_482
; %bb.481:
	s_waitcnt vmcnt(0)
	v_bfe_u32 v13, v12, v9, 3
.LBB6_482:
	s_andn2_saveexec_b32 s9, s9
	s_cbranch_execz .LBB6_484
; %bb.483:
	s_waitcnt vmcnt(0)
	v_bfe_u32 v13, v12, v7, 3
.LBB6_484:
	s_or_b32 exec_lo, exec_lo, s9
.LBB6_485:
	s_andn2_saveexec_b32 s8, s8
	s_cbranch_execz .LBB6_487
; %bb.486:
	s_waitcnt vmcnt(0)
	v_bfe_u32 v13, v12, v8, 3
.LBB6_487:
	s_or_b32 exec_lo, exec_lo, s8
	s_andn2_b32 s3, s3, exec_lo
	s_or_b32 exec_lo, exec_lo, s1
	s_and_saveexec_b32 s1, s3
	s_cbranch_execnz .LBB6_138
	s_branch .LBB6_139
.LBB6_488:
	s_mov_b32 s8, -1
	s_mov_b32 s16, exec_lo
                                        ; implicit-def: $vgpr13
	v_cmpx_eq_u32_e32 21, v10
	s_cbranch_execz .LBB6_490
; %bb.489:
	global_load_dword v13, v[4:5], off offset:4
	s_xor_b32 s8, exec_lo, -1
	s_waitcnt vmcnt(0)
	v_alignbit_b32 v13, v13, v12, 31
	v_and_b32_e32 v13, 7, v13
.LBB6_490:
	s_or_b32 exec_lo, exec_lo, s16
	s_and_b32 s8, s8, exec_lo
	s_andn2_saveexec_b32 s9, s9
	s_cbranch_execz .LBB6_141
.LBB6_491:
	v_cmp_ne_u32_e64 s1, 10, v10
	s_andn2_b32 s8, s8, exec_lo
	s_mov_b32 s3, exec_lo
	s_and_b32 s1, s1, exec_lo
	s_or_b32 s8, s8, s1
	s_or_b32 exec_lo, exec_lo, s9
	s_and_saveexec_b32 s1, s8
	s_xor_b32 s1, exec_lo, s1
	s_cbranch_execz .LBB6_142
.LBB6_492:
                                        ; implicit-def: $vgpr13
	s_and_saveexec_b32 s8, s0
	s_xor_b32 s8, exec_lo, s8
	s_cbranch_execz .LBB6_498
; %bb.493:
                                        ; implicit-def: $vgpr13
	s_and_saveexec_b32 s9, vcc_lo
	s_xor_b32 s9, exec_lo, s9
	s_cbranch_execz .LBB6_495
; %bb.494:
	s_waitcnt vmcnt(0)
	v_bfe_u32 v13, v12, v9, 3
.LBB6_495:
	s_andn2_saveexec_b32 s9, s9
	s_cbranch_execz .LBB6_497
; %bb.496:
	s_waitcnt vmcnt(0)
	v_bfe_u32 v13, v12, v7, 3
.LBB6_497:
	s_or_b32 exec_lo, exec_lo, s9
.LBB6_498:
	s_andn2_saveexec_b32 s8, s8
	s_cbranch_execz .LBB6_500
; %bb.499:
	s_waitcnt vmcnt(0)
	v_bfe_u32 v13, v12, v8, 3
.LBB6_500:
	s_or_b32 exec_lo, exec_lo, s8
	s_andn2_b32 s3, s3, exec_lo
	s_or_b32 exec_lo, exec_lo, s1
	s_and_saveexec_b32 s1, s3
	s_cbranch_execnz .LBB6_143
	s_branch .LBB6_144
.LBB6_501:
	s_mov_b32 s8, -1
	s_mov_b32 s16, exec_lo
                                        ; implicit-def: $vgpr13
	v_cmpx_eq_u32_e32 21, v10
	s_cbranch_execz .LBB6_503
; %bb.502:
	global_load_dword v13, v[4:5], off offset:4
	s_xor_b32 s8, exec_lo, -1
	s_waitcnt vmcnt(0)
	v_alignbit_b32 v13, v13, v12, 31
	v_and_b32_e32 v13, 7, v13
.LBB6_503:
	s_or_b32 exec_lo, exec_lo, s16
	s_and_b32 s8, s8, exec_lo
	s_andn2_saveexec_b32 s9, s9
	s_cbranch_execz .LBB6_146
.LBB6_504:
	v_cmp_ne_u32_e64 s1, 10, v10
	s_andn2_b32 s8, s8, exec_lo
	s_mov_b32 s3, exec_lo
	s_and_b32 s1, s1, exec_lo
	s_or_b32 s8, s8, s1
	s_or_b32 exec_lo, exec_lo, s9
	s_and_saveexec_b32 s1, s8
	s_xor_b32 s1, exec_lo, s1
	s_cbranch_execz .LBB6_147
.LBB6_505:
                                        ; implicit-def: $vgpr13
	s_and_saveexec_b32 s8, s0
	s_xor_b32 s8, exec_lo, s8
	s_cbranch_execz .LBB6_511
; %bb.506:
                                        ; implicit-def: $vgpr13
	s_and_saveexec_b32 s9, vcc_lo
	s_xor_b32 s9, exec_lo, s9
	s_cbranch_execz .LBB6_508
; %bb.507:
	s_waitcnt vmcnt(0)
	v_bfe_u32 v13, v12, v9, 3
.LBB6_508:
	s_andn2_saveexec_b32 s9, s9
	s_cbranch_execz .LBB6_510
; %bb.509:
	s_waitcnt vmcnt(0)
	v_bfe_u32 v13, v12, v7, 3
.LBB6_510:
	s_or_b32 exec_lo, exec_lo, s9
.LBB6_511:
	s_andn2_saveexec_b32 s8, s8
	s_cbranch_execz .LBB6_513
; %bb.512:
	s_waitcnt vmcnt(0)
	v_bfe_u32 v13, v12, v8, 3
.LBB6_513:
	s_or_b32 exec_lo, exec_lo, s8
	s_andn2_b32 s3, s3, exec_lo
	s_or_b32 exec_lo, exec_lo, s1
	s_and_saveexec_b32 s1, s3
	s_cbranch_execnz .LBB6_148
	s_branch .LBB6_149
.LBB6_514:
	s_mov_b32 s8, -1
	s_mov_b32 s16, exec_lo
                                        ; implicit-def: $vgpr13
	v_cmpx_eq_u32_e32 21, v10
	s_cbranch_execz .LBB6_516
; %bb.515:
	global_load_dword v13, v[4:5], off offset:4
	s_xor_b32 s8, exec_lo, -1
	s_waitcnt vmcnt(0)
	v_alignbit_b32 v13, v13, v12, 31
	v_and_b32_e32 v13, 7, v13
.LBB6_516:
	s_or_b32 exec_lo, exec_lo, s16
	s_and_b32 s8, s8, exec_lo
	s_andn2_saveexec_b32 s9, s9
	s_cbranch_execz .LBB6_151
.LBB6_517:
	v_cmp_ne_u32_e64 s1, 10, v10
	s_andn2_b32 s8, s8, exec_lo
	s_mov_b32 s3, exec_lo
	s_and_b32 s1, s1, exec_lo
	s_or_b32 s8, s8, s1
	s_or_b32 exec_lo, exec_lo, s9
	s_and_saveexec_b32 s1, s8
	s_xor_b32 s1, exec_lo, s1
	s_cbranch_execz .LBB6_152
.LBB6_518:
                                        ; implicit-def: $vgpr13
	s_and_saveexec_b32 s8, s0
	s_xor_b32 s8, exec_lo, s8
	s_cbranch_execz .LBB6_524
; %bb.519:
                                        ; implicit-def: $vgpr13
	s_and_saveexec_b32 s9, vcc_lo
	s_xor_b32 s9, exec_lo, s9
	s_cbranch_execz .LBB6_521
; %bb.520:
	s_waitcnt vmcnt(0)
	v_bfe_u32 v13, v12, v9, 3
.LBB6_521:
	s_andn2_saveexec_b32 s9, s9
	s_cbranch_execz .LBB6_523
; %bb.522:
	s_waitcnt vmcnt(0)
	v_bfe_u32 v13, v12, v7, 3
.LBB6_523:
	s_or_b32 exec_lo, exec_lo, s9
.LBB6_524:
	s_andn2_saveexec_b32 s8, s8
	s_cbranch_execz .LBB6_526
; %bb.525:
	s_waitcnt vmcnt(0)
	v_bfe_u32 v13, v12, v8, 3
.LBB6_526:
	s_or_b32 exec_lo, exec_lo, s8
	s_andn2_b32 s3, s3, exec_lo
	s_or_b32 exec_lo, exec_lo, s1
	s_and_saveexec_b32 s1, s3
	s_cbranch_execnz .LBB6_153
	s_branch .LBB6_154
.LBB6_527:
	s_mov_b32 s8, -1
	s_mov_b32 s16, exec_lo
                                        ; implicit-def: $vgpr13
	v_cmpx_eq_u32_e32 21, v10
	s_cbranch_execz .LBB6_529
; %bb.528:
	global_load_dword v13, v[4:5], off offset:4
	s_xor_b32 s8, exec_lo, -1
	s_waitcnt vmcnt(0)
	v_alignbit_b32 v13, v13, v12, 31
	v_and_b32_e32 v13, 7, v13
.LBB6_529:
	s_or_b32 exec_lo, exec_lo, s16
	s_and_b32 s8, s8, exec_lo
	s_andn2_saveexec_b32 s9, s9
	s_cbranch_execz .LBB6_156
.LBB6_530:
	v_cmp_ne_u32_e64 s1, 10, v10
	s_andn2_b32 s8, s8, exec_lo
	s_mov_b32 s3, exec_lo
	s_and_b32 s1, s1, exec_lo
	s_or_b32 s8, s8, s1
	s_or_b32 exec_lo, exec_lo, s9
	s_and_saveexec_b32 s1, s8
	s_xor_b32 s1, exec_lo, s1
	s_cbranch_execz .LBB6_157
.LBB6_531:
                                        ; implicit-def: $vgpr13
	s_and_saveexec_b32 s8, s0
	s_xor_b32 s8, exec_lo, s8
	s_cbranch_execz .LBB6_537
; %bb.532:
                                        ; implicit-def: $vgpr13
	s_and_saveexec_b32 s9, vcc_lo
	s_xor_b32 s9, exec_lo, s9
	s_cbranch_execz .LBB6_534
; %bb.533:
	s_waitcnt vmcnt(0)
	v_bfe_u32 v13, v12, v9, 3
.LBB6_534:
	s_andn2_saveexec_b32 s9, s9
	s_cbranch_execz .LBB6_536
; %bb.535:
	s_waitcnt vmcnt(0)
	v_bfe_u32 v13, v12, v7, 3
.LBB6_536:
	s_or_b32 exec_lo, exec_lo, s9
.LBB6_537:
	s_andn2_saveexec_b32 s8, s8
	s_cbranch_execz .LBB6_539
; %bb.538:
	s_waitcnt vmcnt(0)
	v_bfe_u32 v13, v12, v8, 3
.LBB6_539:
	s_or_b32 exec_lo, exec_lo, s8
	s_andn2_b32 s3, s3, exec_lo
	s_or_b32 exec_lo, exec_lo, s1
	s_and_saveexec_b32 s1, s3
	s_cbranch_execnz .LBB6_158
	s_branch .LBB6_159
.LBB6_540:
	s_mov_b32 s8, -1
	s_mov_b32 s16, exec_lo
                                        ; implicit-def: $vgpr13
	v_cmpx_eq_u32_e32 21, v10
	s_cbranch_execz .LBB6_542
; %bb.541:
	global_load_dword v13, v[4:5], off offset:4
	s_xor_b32 s8, exec_lo, -1
	s_waitcnt vmcnt(0)
	v_alignbit_b32 v13, v13, v12, 31
	v_and_b32_e32 v13, 7, v13
.LBB6_542:
	s_or_b32 exec_lo, exec_lo, s16
	s_and_b32 s8, s8, exec_lo
	s_andn2_saveexec_b32 s9, s9
	s_cbranch_execz .LBB6_161
.LBB6_543:
	v_cmp_ne_u32_e64 s1, 10, v10
	s_andn2_b32 s8, s8, exec_lo
	s_mov_b32 s3, exec_lo
	s_and_b32 s1, s1, exec_lo
	s_or_b32 s8, s8, s1
	s_or_b32 exec_lo, exec_lo, s9
	s_and_saveexec_b32 s1, s8
	s_xor_b32 s1, exec_lo, s1
	s_cbranch_execz .LBB6_162
.LBB6_544:
                                        ; implicit-def: $vgpr13
	s_and_saveexec_b32 s8, s0
	s_xor_b32 s8, exec_lo, s8
	s_cbranch_execz .LBB6_550
; %bb.545:
                                        ; implicit-def: $vgpr13
	s_and_saveexec_b32 s9, vcc_lo
	s_xor_b32 s9, exec_lo, s9
	s_cbranch_execz .LBB6_547
; %bb.546:
	s_waitcnt vmcnt(0)
	v_bfe_u32 v13, v12, v9, 3
.LBB6_547:
	s_andn2_saveexec_b32 s9, s9
	s_cbranch_execz .LBB6_549
; %bb.548:
	s_waitcnt vmcnt(0)
	v_bfe_u32 v13, v12, v7, 3
.LBB6_549:
	s_or_b32 exec_lo, exec_lo, s9
.LBB6_550:
	s_andn2_saveexec_b32 s8, s8
	s_cbranch_execz .LBB6_552
; %bb.551:
	s_waitcnt vmcnt(0)
	v_bfe_u32 v13, v12, v8, 3
.LBB6_552:
	s_or_b32 exec_lo, exec_lo, s8
	s_andn2_b32 s3, s3, exec_lo
	s_or_b32 exec_lo, exec_lo, s1
	s_and_saveexec_b32 s1, s3
	s_cbranch_execnz .LBB6_163
	s_branch .LBB6_164
.LBB6_553:
	s_mov_b32 s8, -1
	s_mov_b32 s16, exec_lo
                                        ; implicit-def: $vgpr13
	v_cmpx_eq_u32_e32 21, v10
	s_cbranch_execz .LBB6_555
; %bb.554:
	global_load_dword v13, v[4:5], off offset:4
	s_xor_b32 s8, exec_lo, -1
	s_waitcnt vmcnt(0)
	v_alignbit_b32 v13, v13, v12, 31
	v_and_b32_e32 v13, 7, v13
.LBB6_555:
	s_or_b32 exec_lo, exec_lo, s16
	s_and_b32 s8, s8, exec_lo
	s_andn2_saveexec_b32 s9, s9
	s_cbranch_execz .LBB6_166
.LBB6_556:
	v_cmp_ne_u32_e64 s1, 10, v10
	s_andn2_b32 s8, s8, exec_lo
	s_mov_b32 s3, exec_lo
	s_and_b32 s1, s1, exec_lo
	s_or_b32 s8, s8, s1
	s_or_b32 exec_lo, exec_lo, s9
	s_and_saveexec_b32 s1, s8
	s_xor_b32 s1, exec_lo, s1
	s_cbranch_execz .LBB6_167
.LBB6_557:
                                        ; implicit-def: $vgpr13
	s_and_saveexec_b32 s8, s0
	s_xor_b32 s8, exec_lo, s8
	s_cbranch_execz .LBB6_563
; %bb.558:
                                        ; implicit-def: $vgpr13
	s_and_saveexec_b32 s9, vcc_lo
	s_xor_b32 s9, exec_lo, s9
	s_cbranch_execz .LBB6_560
; %bb.559:
	s_waitcnt vmcnt(0)
	v_bfe_u32 v13, v12, v9, 3
.LBB6_560:
	s_andn2_saveexec_b32 s9, s9
	s_cbranch_execz .LBB6_562
; %bb.561:
	s_waitcnt vmcnt(0)
	v_bfe_u32 v13, v12, v7, 3
.LBB6_562:
	s_or_b32 exec_lo, exec_lo, s9
.LBB6_563:
	s_andn2_saveexec_b32 s8, s8
	s_cbranch_execz .LBB6_565
; %bb.564:
	s_waitcnt vmcnt(0)
	v_bfe_u32 v13, v12, v8, 3
.LBB6_565:
	s_or_b32 exec_lo, exec_lo, s8
	s_andn2_b32 s3, s3, exec_lo
	s_or_b32 exec_lo, exec_lo, s1
	s_and_saveexec_b32 s1, s3
	s_cbranch_execnz .LBB6_168
	s_branch .LBB6_169
.LBB6_566:
	s_mov_b32 s3, -1
	s_mov_b32 s8, exec_lo
                                        ; implicit-def: $vgpr11
	v_cmpx_eq_u32_e32 21, v10
	s_cbranch_execz .LBB6_568
; %bb.567:
	global_load_dword v10, v[0:1], off offset:4
	s_xor_b32 s3, exec_lo, -1
	s_waitcnt vmcnt(0)
	v_alignbit_b32 v10, v10, v5, 31
	v_and_b32_e32 v11, 7, v10
.LBB6_568:
	s_or_b32 exec_lo, exec_lo, s8
	s_and_b32 s3, s3, exec_lo
                                        ; implicit-def: $vgpr10
	s_andn2_saveexec_b32 s6, s6
	s_cbranch_execz .LBB6_171
.LBB6_569:
	v_cmp_ne_u32_e64 s1, 10, v10
	s_andn2_b32 s3, s3, exec_lo
	s_mov_b32 s2, exec_lo
	s_and_b32 s1, s1, exec_lo
	s_or_b32 s3, s3, s1
	s_or_b32 exec_lo, exec_lo, s6
	s_and_saveexec_b32 s1, s3
	s_xor_b32 s1, exec_lo, s1
	s_cbranch_execz .LBB6_172
.LBB6_570:
                                        ; implicit-def: $vgpr11
	s_and_saveexec_b32 s3, s0
	s_xor_b32 s0, exec_lo, s3
	s_cbranch_execz .LBB6_576
; %bb.571:
                                        ; implicit-def: $vgpr11
	s_and_saveexec_b32 s3, vcc_lo
	s_xor_b32 s3, exec_lo, s3
	s_cbranch_execz .LBB6_573
; %bb.572:
	s_waitcnt vmcnt(0)
	v_bfe_u32 v11, v5, v9, 3
                                        ; implicit-def: $vgpr7
.LBB6_573:
	s_andn2_saveexec_b32 s3, s3
	s_cbranch_execz .LBB6_575
; %bb.574:
	s_waitcnt vmcnt(0)
	v_bfe_u32 v11, v5, v7, 3
.LBB6_575:
	s_or_b32 exec_lo, exec_lo, s3
                                        ; implicit-def: $vgpr8
.LBB6_576:
	s_andn2_saveexec_b32 s0, s0
	s_cbranch_execz .LBB6_578
; %bb.577:
	s_waitcnt vmcnt(0)
	v_bfe_u32 v11, v5, v8, 3
.LBB6_578:
	s_or_b32 exec_lo, exec_lo, s0
	s_andn2_b32 s2, s2, exec_lo
	s_or_b32 exec_lo, exec_lo, s1
	s_and_saveexec_b32 s0, s2
	s_cbranch_execnz .LBB6_173
	s_branch .LBB6_174
	.section	.rodata,"a",@progbits
	.p2align	6, 0x0
	.amdhsa_kernel _ZN4vllm4gptq28reconstruct_gptq_3bit_kernelEPKjPK6__halfS2_PKiiiibPS3_
		.amdhsa_group_segment_fixed_size 0
		.amdhsa_private_segment_fixed_size 0
		.amdhsa_kernarg_size 56
		.amdhsa_user_sgpr_count 6
		.amdhsa_user_sgpr_private_segment_buffer 1
		.amdhsa_user_sgpr_dispatch_ptr 0
		.amdhsa_user_sgpr_queue_ptr 0
		.amdhsa_user_sgpr_kernarg_segment_ptr 1
		.amdhsa_user_sgpr_dispatch_id 0
		.amdhsa_user_sgpr_flat_scratch_init 0
		.amdhsa_user_sgpr_private_segment_size 0
		.amdhsa_wavefront_size32 1
		.amdhsa_uses_dynamic_stack 0
		.amdhsa_system_sgpr_private_segment_wavefront_offset 0
		.amdhsa_system_sgpr_workgroup_id_x 1
		.amdhsa_system_sgpr_workgroup_id_y 1
		.amdhsa_system_sgpr_workgroup_id_z 0
		.amdhsa_system_sgpr_workgroup_info 0
		.amdhsa_system_vgpr_workitem_id 0
		.amdhsa_next_free_vgpr 18
		.amdhsa_next_free_sgpr 20
		.amdhsa_reserve_vcc 1
		.amdhsa_reserve_flat_scratch 0
		.amdhsa_float_round_mode_32 0
		.amdhsa_float_round_mode_16_64 0
		.amdhsa_float_denorm_mode_32 3
		.amdhsa_float_denorm_mode_16_64 3
		.amdhsa_dx10_clamp 1
		.amdhsa_ieee_mode 1
		.amdhsa_fp16_overflow 0
		.amdhsa_workgroup_processor_mode 1
		.amdhsa_memory_ordered 1
		.amdhsa_forward_progress 1
		.amdhsa_shared_vgpr_count 0
		.amdhsa_exception_fp_ieee_invalid_op 0
		.amdhsa_exception_fp_denorm_src 0
		.amdhsa_exception_fp_ieee_div_zero 0
		.amdhsa_exception_fp_ieee_overflow 0
		.amdhsa_exception_fp_ieee_underflow 0
		.amdhsa_exception_fp_ieee_inexact 0
		.amdhsa_exception_int_div_zero 0
	.end_amdhsa_kernel
	.text
.Lfunc_end6:
	.size	_ZN4vllm4gptq28reconstruct_gptq_3bit_kernelEPKjPK6__halfS2_PKiiiibPS3_, .Lfunc_end6-_ZN4vllm4gptq28reconstruct_gptq_3bit_kernelEPKjPK6__halfS2_PKiiiibPS3_
                                        ; -- End function
	.set _ZN4vllm4gptq28reconstruct_gptq_3bit_kernelEPKjPK6__halfS2_PKiiiibPS3_.num_vgpr, 18
	.set _ZN4vllm4gptq28reconstruct_gptq_3bit_kernelEPKjPK6__halfS2_PKiiiibPS3_.num_agpr, 0
	.set _ZN4vllm4gptq28reconstruct_gptq_3bit_kernelEPKjPK6__halfS2_PKiiiibPS3_.numbered_sgpr, 20
	.set _ZN4vllm4gptq28reconstruct_gptq_3bit_kernelEPKjPK6__halfS2_PKiiiibPS3_.num_named_barrier, 0
	.set _ZN4vllm4gptq28reconstruct_gptq_3bit_kernelEPKjPK6__halfS2_PKiiiibPS3_.private_seg_size, 0
	.set _ZN4vllm4gptq28reconstruct_gptq_3bit_kernelEPKjPK6__halfS2_PKiiiibPS3_.uses_vcc, 1
	.set _ZN4vllm4gptq28reconstruct_gptq_3bit_kernelEPKjPK6__halfS2_PKiiiibPS3_.uses_flat_scratch, 0
	.set _ZN4vllm4gptq28reconstruct_gptq_3bit_kernelEPKjPK6__halfS2_PKiiiibPS3_.has_dyn_sized_stack, 0
	.set _ZN4vllm4gptq28reconstruct_gptq_3bit_kernelEPKjPK6__halfS2_PKiiiibPS3_.has_recursion, 0
	.set _ZN4vllm4gptq28reconstruct_gptq_3bit_kernelEPKjPK6__halfS2_PKiiiibPS3_.has_indirect_call, 0
	.section	.AMDGPU.csdata,"",@progbits
; Kernel info:
; codeLenInByte = 15252
; TotalNumSgprs: 22
; NumVgprs: 18
; ScratchSize: 0
; MemoryBound: 0
; FloatMode: 240
; IeeeMode: 1
; LDSByteSize: 0 bytes/workgroup (compile time only)
; SGPRBlocks: 0
; VGPRBlocks: 2
; NumSGPRsForWavesPerEU: 22
; NumVGPRsForWavesPerEU: 18
; Occupancy: 16
; WaveLimiterHint : 1
; COMPUTE_PGM_RSRC2:SCRATCH_EN: 0
; COMPUTE_PGM_RSRC2:USER_SGPR: 6
; COMPUTE_PGM_RSRC2:TRAP_HANDLER: 0
; COMPUTE_PGM_RSRC2:TGID_X_EN: 1
; COMPUTE_PGM_RSRC2:TGID_Y_EN: 1
; COMPUTE_PGM_RSRC2:TGID_Z_EN: 0
; COMPUTE_PGM_RSRC2:TIDIG_COMP_CNT: 0
	.text
	.protected	_ZN4vllm4gptq19shuffle_4bit_kernelEPjii ; -- Begin function _ZN4vllm4gptq19shuffle_4bit_kernelEPjii
	.globl	_ZN4vllm4gptq19shuffle_4bit_kernelEPjii
	.p2align	8
	.type	_ZN4vllm4gptq19shuffle_4bit_kernelEPjii,@function
_ZN4vllm4gptq19shuffle_4bit_kernelEPjii: ; @_ZN4vllm4gptq19shuffle_4bit_kernelEPjii
; %bb.0:
	s_load_dwordx2 s[0:1], s[4:5], 0x8
	v_lshl_add_u32 v0, s6, 5, v0
	s_mov_b32 s6, 0
	s_waitcnt lgkmcnt(0)
	v_cmp_gt_u32_e32 vcc_lo, s1, v0
	s_cmp_gt_i32 s0, 0
	s_cselect_b32 s2, -1, 0
	s_and_b32 s2, vcc_lo, s2
	s_and_saveexec_b32 s3, s2
	s_cbranch_execz .LBB7_3
; %bb.1:
	s_load_dwordx2 s[2:3], s[4:5], 0x0
	v_mov_b32_e32 v1, 0
	v_lshlrev_b64 v[0:1], 2, v[0:1]
	s_waitcnt lgkmcnt(0)
	v_add_co_u32 v0, vcc_lo, s2, v0
	v_add_co_ci_u32_e64 v1, null, s3, v1, vcc_lo
	s_ashr_i32 s3, s1, 31
	s_mov_b32 s2, s1
	s_lshl_b64 s[2:3], s[2:3], 2
	s_inst_prefetch 0x1
	.p2align	6
.LBB7_2:                                ; =>This Inner Loop Header: Depth=1
	global_load_dword v2, v[0:1], off
	s_add_i32 s6, s6, 8
	s_cmp_lt_i32 s6, s0
	s_waitcnt vmcnt(0)
	v_lshrrev_b32_e32 v3, 8, v2
	v_lshrrev_b32_e32 v4, 12, v2
	;; [unrolled: 1-line block ×3, first 2 shown]
	v_lshlrev_b32_e32 v6, 4, v2
	v_and_b32_e32 v7, 0xf000000f, v2
	v_and_b32_e32 v3, 0xf00, v3
	;; [unrolled: 1-line block ×3, first 2 shown]
	v_lshlrev_b32_e32 v8, 12, v2
	v_lshlrev_b32_e32 v2, 8, v2
	v_and_b32_e32 v5, 0xf0, v5
	v_and_b32_e32 v6, 0xf000000, v6
	v_or3_b32 v3, v7, v4, v3
	v_and_b32_e32 v4, 0xf0000, v8
	v_and_b32_e32 v2, 0xf00000, v2
	v_or3_b32 v3, v3, v6, v5
	v_or3_b32 v2, v3, v2, v4
	global_store_dword v[0:1], v2, off
	v_add_co_u32 v0, vcc_lo, v0, s2
	v_add_co_ci_u32_e64 v1, null, s3, v1, vcc_lo
	s_cbranch_scc1 .LBB7_2
.LBB7_3:
	s_inst_prefetch 0x2
	s_endpgm
	.section	.rodata,"a",@progbits
	.p2align	6, 0x0
	.amdhsa_kernel _ZN4vllm4gptq19shuffle_4bit_kernelEPjii
		.amdhsa_group_segment_fixed_size 0
		.amdhsa_private_segment_fixed_size 0
		.amdhsa_kernarg_size 16
		.amdhsa_user_sgpr_count 6
		.amdhsa_user_sgpr_private_segment_buffer 1
		.amdhsa_user_sgpr_dispatch_ptr 0
		.amdhsa_user_sgpr_queue_ptr 0
		.amdhsa_user_sgpr_kernarg_segment_ptr 1
		.amdhsa_user_sgpr_dispatch_id 0
		.amdhsa_user_sgpr_flat_scratch_init 0
		.amdhsa_user_sgpr_private_segment_size 0
		.amdhsa_wavefront_size32 1
		.amdhsa_uses_dynamic_stack 0
		.amdhsa_system_sgpr_private_segment_wavefront_offset 0
		.amdhsa_system_sgpr_workgroup_id_x 1
		.amdhsa_system_sgpr_workgroup_id_y 0
		.amdhsa_system_sgpr_workgroup_id_z 0
		.amdhsa_system_sgpr_workgroup_info 0
		.amdhsa_system_vgpr_workitem_id 0
		.amdhsa_next_free_vgpr 9
		.amdhsa_next_free_sgpr 7
		.amdhsa_reserve_vcc 1
		.amdhsa_reserve_flat_scratch 0
		.amdhsa_float_round_mode_32 0
		.amdhsa_float_round_mode_16_64 0
		.amdhsa_float_denorm_mode_32 3
		.amdhsa_float_denorm_mode_16_64 3
		.amdhsa_dx10_clamp 1
		.amdhsa_ieee_mode 1
		.amdhsa_fp16_overflow 0
		.amdhsa_workgroup_processor_mode 1
		.amdhsa_memory_ordered 1
		.amdhsa_forward_progress 1
		.amdhsa_shared_vgpr_count 0
		.amdhsa_exception_fp_ieee_invalid_op 0
		.amdhsa_exception_fp_denorm_src 0
		.amdhsa_exception_fp_ieee_div_zero 0
		.amdhsa_exception_fp_ieee_overflow 0
		.amdhsa_exception_fp_ieee_underflow 0
		.amdhsa_exception_fp_ieee_inexact 0
		.amdhsa_exception_int_div_zero 0
	.end_amdhsa_kernel
	.text
.Lfunc_end7:
	.size	_ZN4vllm4gptq19shuffle_4bit_kernelEPjii, .Lfunc_end7-_ZN4vllm4gptq19shuffle_4bit_kernelEPjii
                                        ; -- End function
	.set _ZN4vllm4gptq19shuffle_4bit_kernelEPjii.num_vgpr, 9
	.set _ZN4vllm4gptq19shuffle_4bit_kernelEPjii.num_agpr, 0
	.set _ZN4vllm4gptq19shuffle_4bit_kernelEPjii.numbered_sgpr, 7
	.set _ZN4vllm4gptq19shuffle_4bit_kernelEPjii.num_named_barrier, 0
	.set _ZN4vllm4gptq19shuffle_4bit_kernelEPjii.private_seg_size, 0
	.set _ZN4vllm4gptq19shuffle_4bit_kernelEPjii.uses_vcc, 1
	.set _ZN4vllm4gptq19shuffle_4bit_kernelEPjii.uses_flat_scratch, 0
	.set _ZN4vllm4gptq19shuffle_4bit_kernelEPjii.has_dyn_sized_stack, 0
	.set _ZN4vllm4gptq19shuffle_4bit_kernelEPjii.has_recursion, 0
	.set _ZN4vllm4gptq19shuffle_4bit_kernelEPjii.has_indirect_call, 0
	.section	.AMDGPU.csdata,"",@progbits
; Kernel info:
; codeLenInByte = 288
; TotalNumSgprs: 9
; NumVgprs: 9
; ScratchSize: 0
; MemoryBound: 0
; FloatMode: 240
; IeeeMode: 1
; LDSByteSize: 0 bytes/workgroup (compile time only)
; SGPRBlocks: 0
; VGPRBlocks: 1
; NumSGPRsForWavesPerEU: 9
; NumVGPRsForWavesPerEU: 9
; Occupancy: 16
; WaveLimiterHint : 0
; COMPUTE_PGM_RSRC2:SCRATCH_EN: 0
; COMPUTE_PGM_RSRC2:USER_SGPR: 6
; COMPUTE_PGM_RSRC2:TRAP_HANDLER: 0
; COMPUTE_PGM_RSRC2:TGID_X_EN: 1
; COMPUTE_PGM_RSRC2:TGID_Y_EN: 0
; COMPUTE_PGM_RSRC2:TGID_Z_EN: 0
; COMPUTE_PGM_RSRC2:TIDIG_COMP_CNT: 0
	.text
	.protected	_ZN4vllm4gptq19shuffle_8bit_kernelEPjii ; -- Begin function _ZN4vllm4gptq19shuffle_8bit_kernelEPjii
	.globl	_ZN4vllm4gptq19shuffle_8bit_kernelEPjii
	.p2align	8
	.type	_ZN4vllm4gptq19shuffle_8bit_kernelEPjii,@function
_ZN4vllm4gptq19shuffle_8bit_kernelEPjii: ; @_ZN4vllm4gptq19shuffle_8bit_kernelEPjii
; %bb.0:
	s_endpgm
	.section	.rodata,"a",@progbits
	.p2align	6, 0x0
	.amdhsa_kernel _ZN4vllm4gptq19shuffle_8bit_kernelEPjii
		.amdhsa_group_segment_fixed_size 0
		.amdhsa_private_segment_fixed_size 0
		.amdhsa_kernarg_size 16
		.amdhsa_user_sgpr_count 6
		.amdhsa_user_sgpr_private_segment_buffer 1
		.amdhsa_user_sgpr_dispatch_ptr 0
		.amdhsa_user_sgpr_queue_ptr 0
		.amdhsa_user_sgpr_kernarg_segment_ptr 1
		.amdhsa_user_sgpr_dispatch_id 0
		.amdhsa_user_sgpr_flat_scratch_init 0
		.amdhsa_user_sgpr_private_segment_size 0
		.amdhsa_wavefront_size32 1
		.amdhsa_uses_dynamic_stack 0
		.amdhsa_system_sgpr_private_segment_wavefront_offset 0
		.amdhsa_system_sgpr_workgroup_id_x 1
		.amdhsa_system_sgpr_workgroup_id_y 0
		.amdhsa_system_sgpr_workgroup_id_z 0
		.amdhsa_system_sgpr_workgroup_info 0
		.amdhsa_system_vgpr_workitem_id 0
		.amdhsa_next_free_vgpr 1
		.amdhsa_next_free_sgpr 1
		.amdhsa_reserve_vcc 0
		.amdhsa_reserve_flat_scratch 0
		.amdhsa_float_round_mode_32 0
		.amdhsa_float_round_mode_16_64 0
		.amdhsa_float_denorm_mode_32 3
		.amdhsa_float_denorm_mode_16_64 3
		.amdhsa_dx10_clamp 1
		.amdhsa_ieee_mode 1
		.amdhsa_fp16_overflow 0
		.amdhsa_workgroup_processor_mode 1
		.amdhsa_memory_ordered 1
		.amdhsa_forward_progress 1
		.amdhsa_shared_vgpr_count 0
		.amdhsa_exception_fp_ieee_invalid_op 0
		.amdhsa_exception_fp_denorm_src 0
		.amdhsa_exception_fp_ieee_div_zero 0
		.amdhsa_exception_fp_ieee_overflow 0
		.amdhsa_exception_fp_ieee_underflow 0
		.amdhsa_exception_fp_ieee_inexact 0
		.amdhsa_exception_int_div_zero 0
	.end_amdhsa_kernel
	.text
.Lfunc_end8:
	.size	_ZN4vllm4gptq19shuffle_8bit_kernelEPjii, .Lfunc_end8-_ZN4vllm4gptq19shuffle_8bit_kernelEPjii
                                        ; -- End function
	.set _ZN4vllm4gptq19shuffle_8bit_kernelEPjii.num_vgpr, 0
	.set _ZN4vllm4gptq19shuffle_8bit_kernelEPjii.num_agpr, 0
	.set _ZN4vllm4gptq19shuffle_8bit_kernelEPjii.numbered_sgpr, 0
	.set _ZN4vllm4gptq19shuffle_8bit_kernelEPjii.num_named_barrier, 0
	.set _ZN4vllm4gptq19shuffle_8bit_kernelEPjii.private_seg_size, 0
	.set _ZN4vllm4gptq19shuffle_8bit_kernelEPjii.uses_vcc, 0
	.set _ZN4vllm4gptq19shuffle_8bit_kernelEPjii.uses_flat_scratch, 0
	.set _ZN4vllm4gptq19shuffle_8bit_kernelEPjii.has_dyn_sized_stack, 0
	.set _ZN4vllm4gptq19shuffle_8bit_kernelEPjii.has_recursion, 0
	.set _ZN4vllm4gptq19shuffle_8bit_kernelEPjii.has_indirect_call, 0
	.section	.AMDGPU.csdata,"",@progbits
; Kernel info:
; codeLenInByte = 4
; TotalNumSgprs: 0
; NumVgprs: 0
; ScratchSize: 0
; MemoryBound: 0
; FloatMode: 240
; IeeeMode: 1
; LDSByteSize: 0 bytes/workgroup (compile time only)
; SGPRBlocks: 0
; VGPRBlocks: 0
; NumSGPRsForWavesPerEU: 1
; NumVGPRsForWavesPerEU: 1
; Occupancy: 16
; WaveLimiterHint : 0
; COMPUTE_PGM_RSRC2:SCRATCH_EN: 0
; COMPUTE_PGM_RSRC2:USER_SGPR: 6
; COMPUTE_PGM_RSRC2:TRAP_HANDLER: 0
; COMPUTE_PGM_RSRC2:TGID_X_EN: 1
; COMPUTE_PGM_RSRC2:TGID_Y_EN: 0
; COMPUTE_PGM_RSRC2:TGID_Z_EN: 0
; COMPUTE_PGM_RSRC2:TIDIG_COMP_CNT: 0
	.text
	.protected	_ZN4vllm4gptq19shuffle_2bit_kernelEPjii ; -- Begin function _ZN4vllm4gptq19shuffle_2bit_kernelEPjii
	.globl	_ZN4vllm4gptq19shuffle_2bit_kernelEPjii
	.p2align	8
	.type	_ZN4vllm4gptq19shuffle_2bit_kernelEPjii,@function
_ZN4vllm4gptq19shuffle_2bit_kernelEPjii: ; @_ZN4vllm4gptq19shuffle_2bit_kernelEPjii
; %bb.0:
	s_load_dwordx2 s[0:1], s[4:5], 0x8
	v_lshl_add_u32 v0, s6, 5, v0
	s_mov_b32 s6, 0
	s_waitcnt lgkmcnt(0)
	v_cmp_gt_u32_e32 vcc_lo, s1, v0
	s_cmp_gt_i32 s0, 0
	s_cselect_b32 s2, -1, 0
	s_and_b32 s2, vcc_lo, s2
	s_and_saveexec_b32 s3, s2
	s_cbranch_execz .LBB9_3
; %bb.1:
	s_load_dwordx2 s[2:3], s[4:5], 0x0
	v_mov_b32_e32 v1, 0
	v_lshlrev_b64 v[0:1], 2, v[0:1]
	s_waitcnt lgkmcnt(0)
	v_add_co_u32 v0, vcc_lo, s2, v0
	v_add_co_ci_u32_e64 v1, null, s3, v1, vcc_lo
	s_ashr_i32 s3, s1, 31
	s_mov_b32 s2, s1
	s_lshl_b64 s[2:3], s[2:3], 2
.LBB9_2:                                ; =>This Inner Loop Header: Depth=1
	global_load_dword v2, v[0:1], off
	s_add_i32 s6, s6, 16
	s_cmp_lt_i32 s6, s0
	s_waitcnt vmcnt(0)
	v_lshrrev_b32_e32 v3, 12, v2
	v_lshrrev_b32_e32 v4, 14, v2
	;; [unrolled: 1-line block ×3, first 2 shown]
	v_lshlrev_b32_e32 v6, 2, v2
	v_and_b32_e32 v7, 0xc0000003, v2
	v_and_b32_e32 v3, 0x3000, v3
	;; [unrolled: 1-line block ×3, first 2 shown]
	v_lshrrev_b32_e32 v8, 8, v2
	v_lshlrev_b32_e32 v9, 4, v2
	v_and_b32_e32 v5, 0xc00, v5
	v_and_b32_e32 v6, 0x30000000, v6
	v_or3_b32 v3, v7, v4, v3
	v_lshrrev_b32_e32 v4, 6, v2
	v_lshlrev_b32_e32 v7, 6, v2
	v_and_b32_e32 v8, 0x300, v8
	v_and_b32_e32 v9, 0xc000000, v9
	v_or3_b32 v3, v3, v6, v5
	;; [unrolled: 5-line block ×4, first 2 shown]
	v_lshlrev_b32_e32 v4, 14, v2
	v_lshlrev_b32_e32 v2, 12, v2
	v_and_b32_e32 v7, 12, v8
	v_and_b32_e32 v8, 0x300000, v9
	v_or3_b32 v3, v3, v6, v5
	v_and_b32_e32 v4, 0x30000, v4
	v_and_b32_e32 v2, 0xc0000, v2
	v_or3_b32 v3, v3, v8, v7
	v_or3_b32 v2, v3, v2, v4
	global_store_dword v[0:1], v2, off
	v_add_co_u32 v0, vcc_lo, v0, s2
	v_add_co_ci_u32_e64 v1, null, s3, v1, vcc_lo
	s_cbranch_scc1 .LBB9_2
.LBB9_3:
	s_endpgm
	.section	.rodata,"a",@progbits
	.p2align	6, 0x0
	.amdhsa_kernel _ZN4vllm4gptq19shuffle_2bit_kernelEPjii
		.amdhsa_group_segment_fixed_size 0
		.amdhsa_private_segment_fixed_size 0
		.amdhsa_kernarg_size 16
		.amdhsa_user_sgpr_count 6
		.amdhsa_user_sgpr_private_segment_buffer 1
		.amdhsa_user_sgpr_dispatch_ptr 0
		.amdhsa_user_sgpr_queue_ptr 0
		.amdhsa_user_sgpr_kernarg_segment_ptr 1
		.amdhsa_user_sgpr_dispatch_id 0
		.amdhsa_user_sgpr_flat_scratch_init 0
		.amdhsa_user_sgpr_private_segment_size 0
		.amdhsa_wavefront_size32 1
		.amdhsa_uses_dynamic_stack 0
		.amdhsa_system_sgpr_private_segment_wavefront_offset 0
		.amdhsa_system_sgpr_workgroup_id_x 1
		.amdhsa_system_sgpr_workgroup_id_y 0
		.amdhsa_system_sgpr_workgroup_id_z 0
		.amdhsa_system_sgpr_workgroup_info 0
		.amdhsa_system_vgpr_workitem_id 0
		.amdhsa_next_free_vgpr 10
		.amdhsa_next_free_sgpr 7
		.amdhsa_reserve_vcc 1
		.amdhsa_reserve_flat_scratch 0
		.amdhsa_float_round_mode_32 0
		.amdhsa_float_round_mode_16_64 0
		.amdhsa_float_denorm_mode_32 3
		.amdhsa_float_denorm_mode_16_64 3
		.amdhsa_dx10_clamp 1
		.amdhsa_ieee_mode 1
		.amdhsa_fp16_overflow 0
		.amdhsa_workgroup_processor_mode 1
		.amdhsa_memory_ordered 1
		.amdhsa_forward_progress 1
		.amdhsa_shared_vgpr_count 0
		.amdhsa_exception_fp_ieee_invalid_op 0
		.amdhsa_exception_fp_denorm_src 0
		.amdhsa_exception_fp_ieee_div_zero 0
		.amdhsa_exception_fp_ieee_overflow 0
		.amdhsa_exception_fp_ieee_underflow 0
		.amdhsa_exception_fp_ieee_inexact 0
		.amdhsa_exception_int_div_zero 0
	.end_amdhsa_kernel
	.text
.Lfunc_end9:
	.size	_ZN4vllm4gptq19shuffle_2bit_kernelEPjii, .Lfunc_end9-_ZN4vllm4gptq19shuffle_2bit_kernelEPjii
                                        ; -- End function
	.set _ZN4vllm4gptq19shuffle_2bit_kernelEPjii.num_vgpr, 10
	.set _ZN4vllm4gptq19shuffle_2bit_kernelEPjii.num_agpr, 0
	.set _ZN4vllm4gptq19shuffle_2bit_kernelEPjii.numbered_sgpr, 7
	.set _ZN4vllm4gptq19shuffle_2bit_kernelEPjii.num_named_barrier, 0
	.set _ZN4vllm4gptq19shuffle_2bit_kernelEPjii.private_seg_size, 0
	.set _ZN4vllm4gptq19shuffle_2bit_kernelEPjii.uses_vcc, 1
	.set _ZN4vllm4gptq19shuffle_2bit_kernelEPjii.uses_flat_scratch, 0
	.set _ZN4vllm4gptq19shuffle_2bit_kernelEPjii.has_dyn_sized_stack, 0
	.set _ZN4vllm4gptq19shuffle_2bit_kernelEPjii.has_recursion, 0
	.set _ZN4vllm4gptq19shuffle_2bit_kernelEPjii.has_indirect_call, 0
	.section	.AMDGPU.csdata,"",@progbits
; Kernel info:
; codeLenInByte = 376
; TotalNumSgprs: 9
; NumVgprs: 10
; ScratchSize: 0
; MemoryBound: 0
; FloatMode: 240
; IeeeMode: 1
; LDSByteSize: 0 bytes/workgroup (compile time only)
; SGPRBlocks: 0
; VGPRBlocks: 1
; NumSGPRsForWavesPerEU: 9
; NumVGPRsForWavesPerEU: 10
; Occupancy: 16
; WaveLimiterHint : 0
; COMPUTE_PGM_RSRC2:SCRATCH_EN: 0
; COMPUTE_PGM_RSRC2:USER_SGPR: 6
; COMPUTE_PGM_RSRC2:TRAP_HANDLER: 0
; COMPUTE_PGM_RSRC2:TGID_X_EN: 1
; COMPUTE_PGM_RSRC2:TGID_Y_EN: 0
; COMPUTE_PGM_RSRC2:TGID_Z_EN: 0
; COMPUTE_PGM_RSRC2:TIDIG_COMP_CNT: 0
	.text
	.protected	_ZN4vllm4gptq19shuffle_3bit_kernelEPjii ; -- Begin function _ZN4vllm4gptq19shuffle_3bit_kernelEPjii
	.globl	_ZN4vllm4gptq19shuffle_3bit_kernelEPjii
	.p2align	8
	.type	_ZN4vllm4gptq19shuffle_3bit_kernelEPjii,@function
_ZN4vllm4gptq19shuffle_3bit_kernelEPjii: ; @_ZN4vllm4gptq19shuffle_3bit_kernelEPjii
; %bb.0:
	s_load_dwordx2 s[0:1], s[4:5], 0x8
	v_lshl_add_u32 v0, s6, 5, v0
	s_mov_b32 s6, 0
	s_waitcnt lgkmcnt(0)
	v_cmp_gt_u32_e32 vcc_lo, s1, v0
	s_cmp_gt_i32 s0, 0
	s_cselect_b32 s2, -1, 0
	s_and_b32 s2, vcc_lo, s2
	s_and_saveexec_b32 s3, s2
	s_cbranch_execz .LBB10_3
; %bb.1:
	s_load_dwordx2 s[2:3], s[4:5], 0x0
	v_mov_b32_e32 v1, 0
	s_ashr_i32 s5, s1, 31
	s_mov_b32 s4, s1
	s_mul_hi_i32 s7, s1, 12
	s_mul_i32 s1, s1, 12
	v_lshlrev_b64 v[0:1], 2, v[0:1]
	s_waitcnt lgkmcnt(0)
	v_add_co_u32 v0, vcc_lo, s2, v0
	v_add_co_ci_u32_e64 v1, null, s3, v1, vcc_lo
	s_lshl_b64 s[2:3], s[4:5], 2
	s_lshl_b64 s[4:5], s[4:5], 3
.LBB10_2:                               ; =>This Inner Loop Header: Depth=1
	v_add_co_u32 v2, vcc_lo, v0, s2
	global_load_dword v6, v[0:1], off
	v_add_co_ci_u32_e64 v3, null, s3, v1, vcc_lo
	v_add_co_u32 v4, vcc_lo, v0, s4
	v_add_co_ci_u32_e64 v5, null, s5, v1, vcc_lo
	s_clause 0x1
	global_load_dword v7, v[2:3], off
	global_load_dword v8, v[4:5], off
	s_add_i32 s6, s6, 32
	s_cmp_lt_i32 s6, s0
	s_waitcnt vmcnt(2)
	v_and_b32_e32 v9, 7, v6
	v_lshlrev_b32_e32 v10, 13, v6
	v_lshrrev_b32_e32 v11, 3, v6
	v_lshlrev_b32_e32 v12, 10, v6
	v_lshrrev_b32_e32 v13, 6, v6
	v_lshlrev_b32_e32 v14, 7, v6
	v_lshrrev_b32_e32 v15, 9, v6
	v_lshlrev_b32_e32 v16, 4, v6
	v_lshrrev_b32_e32 v17, 12, v6
	v_lshlrev_b32_e32 v18, 1, v6
	v_and_or_b32 v9, 0x70000, v10, v9
	v_and_b32_e32 v10, 56, v11
	v_and_b32_e32 v11, 0x380000, v12
	s_waitcnt vmcnt(1)
	v_alignbit_b32 v6, v7, v6, 30
	s_waitcnt vmcnt(0)
	v_alignbit_b32 v19, v8, v7, 28
	v_and_b32_e32 v7, 0x70000000, v18
	v_lshrrev_b32_e32 v18, 12, v8
	v_lshlrev_b32_e32 v22, 1, v8
	v_or3_b32 v9, v9, v10, v11
	v_and_b32_e32 v10, 7, v6
	v_lshlrev_b32_e32 v11, 13, v6
	v_and_b32_e32 v12, 0x1c0, v13
	v_and_b32_e32 v13, 0x1c00000, v14
	;; [unrolled: 1-line block ×5, first 2 shown]
	v_lshrrev_b32_e32 v17, 11, v8
	v_lshrrev_b32_e32 v20, 13, v8
	v_lshlrev_b32_e32 v21, 2, v8
	v_and_b32_e32 v8, 0x80000000, v8
	v_lshlrev_b32_e32 v24, 10, v6
	v_lshrrev_b32_e32 v27, 9, v6
	v_lshlrev_b32_e32 v31, 13, v19
	v_lshrrev_b32_e32 v23, 3, v6
	v_and_b32_e32 v18, 0x8000, v18
	v_and_b32_e32 v11, 0x70000, v11
	v_and_or_b32 v10, 0x80000000, v22, v10
	v_lshrrev_b32_e32 v25, 6, v6
	v_lshlrev_b32_e32 v26, 7, v6
	v_lshlrev_b32_e32 v28, 4, v6
	v_lshrrev_b32_e32 v29, 12, v6
	v_and_b32_e32 v30, 7, v19
	v_lshrrev_b32_e32 v32, 3, v19
	v_lshlrev_b32_e32 v33, 10, v19
	v_and_or_b32 v8, 0x8000, v20, v8
	v_or3_b32 v9, v9, v12, v13
	v_and_b32_e32 v13, 0x380000, v24
	v_and_b32_e32 v24, 0xe00, v27
	;; [unrolled: 1-line block ×4, first 2 shown]
	v_or3_b32 v10, v10, v18, v11
	v_lshrrev_b32_e32 v34, 6, v19
	v_lshlrev_b32_e32 v35, 7, v19
	v_and_b32_e32 v20, 0x1c0, v25
	v_and_b32_e32 v23, 0x1c00000, v26
	;; [unrolled: 1-line block ×6, first 2 shown]
	v_or3_b32 v8, v8, v30, v27
	v_or3_b32 v9, v9, v14, v15
	;; [unrolled: 1-line block ×3, first 2 shown]
	v_lshrrev_b32_e32 v36, 9, v19
	v_lshlrev_b32_e32 v37, 4, v19
	v_and_b32_e32 v31, 0x1c0, v34
	v_and_b32_e32 v32, 0x1c00000, v35
	v_or3_b32 v8, v8, v28, v29
	v_and_b32_e32 v17, 0x8000, v17
	v_and_b32_e32 v21, 0x80000000, v21
	v_or3_b32 v7, v9, v16, v7
	v_lshlrev_b32_e32 v6, 1, v6
	v_or3_b32 v9, v10, v20, v23
	v_lshrrev_b32_e32 v38, 12, v19
	v_lshlrev_b32_e32 v19, 1, v19
	v_and_b32_e32 v33, 0xe00, v36
	v_and_b32_e32 v22, 0xe000000, v37
	v_or3_b32 v8, v8, v31, v32
	v_or3_b32 v7, v7, v21, v17
	v_and_b32_e32 v6, 0x70000000, v6
	v_or3_b32 v9, v9, v24, v25
	v_and_b32_e32 v34, 0x7000, v38
	v_and_b32_e32 v19, 0x70000000, v19
	v_or3_b32 v8, v8, v33, v22
	global_store_dword v[0:1], v7, off
	v_add_co_u32 v0, vcc_lo, v0, s1
	v_or3_b32 v6, v9, v26, v6
	v_add_co_ci_u32_e64 v1, null, s7, v1, vcc_lo
	v_or3_b32 v7, v8, v34, v19
	global_store_dword v[2:3], v6, off
	global_store_dword v[4:5], v7, off
	s_cbranch_scc1 .LBB10_2
.LBB10_3:
	s_endpgm
	.section	.rodata,"a",@progbits
	.p2align	6, 0x0
	.amdhsa_kernel _ZN4vllm4gptq19shuffle_3bit_kernelEPjii
		.amdhsa_group_segment_fixed_size 0
		.amdhsa_private_segment_fixed_size 0
		.amdhsa_kernarg_size 16
		.amdhsa_user_sgpr_count 6
		.amdhsa_user_sgpr_private_segment_buffer 1
		.amdhsa_user_sgpr_dispatch_ptr 0
		.amdhsa_user_sgpr_queue_ptr 0
		.amdhsa_user_sgpr_kernarg_segment_ptr 1
		.amdhsa_user_sgpr_dispatch_id 0
		.amdhsa_user_sgpr_flat_scratch_init 0
		.amdhsa_user_sgpr_private_segment_size 0
		.amdhsa_wavefront_size32 1
		.amdhsa_uses_dynamic_stack 0
		.amdhsa_system_sgpr_private_segment_wavefront_offset 0
		.amdhsa_system_sgpr_workgroup_id_x 1
		.amdhsa_system_sgpr_workgroup_id_y 0
		.amdhsa_system_sgpr_workgroup_id_z 0
		.amdhsa_system_sgpr_workgroup_info 0
		.amdhsa_system_vgpr_workitem_id 0
		.amdhsa_next_free_vgpr 39
		.amdhsa_next_free_sgpr 8
		.amdhsa_reserve_vcc 1
		.amdhsa_reserve_flat_scratch 0
		.amdhsa_float_round_mode_32 0
		.amdhsa_float_round_mode_16_64 0
		.amdhsa_float_denorm_mode_32 3
		.amdhsa_float_denorm_mode_16_64 3
		.amdhsa_dx10_clamp 1
		.amdhsa_ieee_mode 1
		.amdhsa_fp16_overflow 0
		.amdhsa_workgroup_processor_mode 1
		.amdhsa_memory_ordered 1
		.amdhsa_forward_progress 1
		.amdhsa_shared_vgpr_count 0
		.amdhsa_exception_fp_ieee_invalid_op 0
		.amdhsa_exception_fp_denorm_src 0
		.amdhsa_exception_fp_ieee_div_zero 0
		.amdhsa_exception_fp_ieee_overflow 0
		.amdhsa_exception_fp_ieee_underflow 0
		.amdhsa_exception_fp_ieee_inexact 0
		.amdhsa_exception_int_div_zero 0
	.end_amdhsa_kernel
	.text
.Lfunc_end10:
	.size	_ZN4vllm4gptq19shuffle_3bit_kernelEPjii, .Lfunc_end10-_ZN4vllm4gptq19shuffle_3bit_kernelEPjii
                                        ; -- End function
	.set _ZN4vllm4gptq19shuffle_3bit_kernelEPjii.num_vgpr, 39
	.set _ZN4vllm4gptq19shuffle_3bit_kernelEPjii.num_agpr, 0
	.set _ZN4vllm4gptq19shuffle_3bit_kernelEPjii.numbered_sgpr, 8
	.set _ZN4vllm4gptq19shuffle_3bit_kernelEPjii.num_named_barrier, 0
	.set _ZN4vllm4gptq19shuffle_3bit_kernelEPjii.private_seg_size, 0
	.set _ZN4vllm4gptq19shuffle_3bit_kernelEPjii.uses_vcc, 1
	.set _ZN4vllm4gptq19shuffle_3bit_kernelEPjii.uses_flat_scratch, 0
	.set _ZN4vllm4gptq19shuffle_3bit_kernelEPjii.has_dyn_sized_stack, 0
	.set _ZN4vllm4gptq19shuffle_3bit_kernelEPjii.has_recursion, 0
	.set _ZN4vllm4gptq19shuffle_3bit_kernelEPjii.has_indirect_call, 0
	.section	.AMDGPU.csdata,"",@progbits
; Kernel info:
; codeLenInByte = 780
; TotalNumSgprs: 10
; NumVgprs: 39
; ScratchSize: 0
; MemoryBound: 0
; FloatMode: 240
; IeeeMode: 1
; LDSByteSize: 0 bytes/workgroup (compile time only)
; SGPRBlocks: 0
; VGPRBlocks: 4
; NumSGPRsForWavesPerEU: 10
; NumVGPRsForWavesPerEU: 39
; Occupancy: 16
; WaveLimiterHint : 0
; COMPUTE_PGM_RSRC2:SCRATCH_EN: 0
; COMPUTE_PGM_RSRC2:USER_SGPR: 6
; COMPUTE_PGM_RSRC2:TRAP_HANDLER: 0
; COMPUTE_PGM_RSRC2:TGID_X_EN: 1
; COMPUTE_PGM_RSRC2:TGID_Y_EN: 0
; COMPUTE_PGM_RSRC2:TGID_Z_EN: 0
; COMPUTE_PGM_RSRC2:TIDIG_COMP_CNT: 0
	.text
	.protected	_ZN4vllm4gptq27make_sequential_4bit_kernelEPKjPjPKii ; -- Begin function _ZN4vllm4gptq27make_sequential_4bit_kernelEPKjPjPKii
	.globl	_ZN4vllm4gptq27make_sequential_4bit_kernelEPKjPjPKii
	.p2align	8
	.type	_ZN4vllm4gptq27make_sequential_4bit_kernelEPKjPjPKii,@function
_ZN4vllm4gptq27make_sequential_4bit_kernelEPKjPjPKii: ; @_ZN4vllm4gptq27make_sequential_4bit_kernelEPKjPjPKii
; %bb.0:
	s_load_dword s0, s[4:5], 0x18
	v_lshl_add_u32 v0, s6, 5, v0
	s_waitcnt lgkmcnt(0)
	s_ashr_i32 s6, s0, 1
	s_mov_b32 s0, exec_lo
	v_cmpx_gt_u32_e64 s6, v0
	s_cbranch_execz .LBB11_2
; %bb.1:
	s_load_dwordx2 s[0:1], s[4:5], 0x10
	s_lshl_b32 s2, s7, 3
	s_ashr_i32 s3, s2, 31
	s_lshl_b64 s[2:3], s[2:3], 2
	s_waitcnt lgkmcnt(0)
	s_add_u32 s0, s0, s2
	s_addc_u32 s1, s1, s3
	s_load_dwordx8 s[8:15], s[0:1], 0x0
	s_load_dwordx4 s[0:3], s[4:5], 0x0
	s_waitcnt lgkmcnt(0)
	s_ashr_i32 s4, s8, 3
	s_ashr_i32 s5, s9, 3
	v_mad_u64_u32 v[1:2], null, s4, s6, v[0:1]
	v_mov_b32_e32 v2, 0
	s_ashr_i32 s16, s10, 3
	s_ashr_i32 s17, s11, 3
	;; [unrolled: 1-line block ×5, first 2 shown]
	v_mad_u64_u32 v[3:4], null, s5, s6, v[0:1]
	v_mad_u64_u32 v[5:6], null, s16, s6, v[0:1]
	v_mov_b32_e32 v4, v2
	v_mad_u64_u32 v[7:8], null, s17, s6, v[0:1]
	v_mad_u64_u32 v[15:16], null, s21, s6, v[0:1]
	v_mov_b32_e32 v6, v2
	v_mad_u64_u32 v[9:10], null, s18, s6, v[0:1]
	v_lshlrev_b64 v[16:17], 3, v[1:2]
	v_mov_b32_e32 v8, v2
	s_ashr_i32 s20, s14, 3
	v_mad_u64_u32 v[11:12], null, s19, s6, v[0:1]
	v_lshlrev_b64 v[3:4], 3, v[3:4]
	v_mov_b32_e32 v10, v2
	v_mad_u64_u32 v[13:14], null, s20, s6, v[0:1]
	v_lshlrev_b64 v[5:6], 3, v[5:6]
	v_mov_b32_e32 v12, v2
	v_lshlrev_b64 v[7:8], 3, v[7:8]
	v_add_co_u32 v18, vcc_lo, s0, v16
	v_mov_b32_e32 v14, v2
	v_lshlrev_b64 v[9:10], 3, v[9:10]
	v_add_co_ci_u32_e64 v19, null, s1, v17, vcc_lo
	v_add_co_u32 v3, vcc_lo, s0, v3
	v_mov_b32_e32 v16, v2
	v_lshlrev_b64 v[11:12], 3, v[11:12]
	v_add_co_ci_u32_e64 v4, null, s1, v4, vcc_lo
	v_add_co_u32 v5, vcc_lo, s0, v5
	v_add_co_ci_u32_e64 v6, null, s1, v6, vcc_lo
	v_add_co_u32 v7, vcc_lo, s0, v7
	v_lshlrev_b64 v[13:14], 3, v[13:14]
	v_add_co_ci_u32_e64 v8, null, s1, v8, vcc_lo
	v_add_co_u32 v9, vcc_lo, s0, v9
	v_lshlrev_b64 v[15:16], 3, v[15:16]
	v_add_co_ci_u32_e64 v10, null, s1, v10, vcc_lo
	v_add_co_u32 v11, vcc_lo, s0, v11
	v_add_co_ci_u32_e64 v12, null, s1, v12, vcc_lo
	v_add_co_u32 v13, vcc_lo, s0, v13
	;; [unrolled: 2-line block ×3, first 2 shown]
	v_add_co_ci_u32_e64 v16, null, s1, v16, vcc_lo
	s_clause 0x7
	global_load_dwordx2 v[17:18], v[18:19], off
	global_load_dwordx2 v[3:4], v[3:4], off
	;; [unrolled: 1-line block ×8, first 2 shown]
	s_lshl_b32 s1, s9, 2
	v_mad_u64_u32 v[0:1], null, s6, s7, v[0:1]
	s_and_b32 s1, s1, 28
	v_mov_b32_e32 v1, v2
	s_lshl_b32 s4, s10, 2
	s_lshl_b32 s5, s11, 2
	;; [unrolled: 1-line block ×3, first 2 shown]
	s_and_b32 s4, s4, 28
	s_and_b32 s5, s5, 28
	;; [unrolled: 1-line block ×3, first 2 shown]
	s_lshl_b32 s6, s12, 2
	s_lshl_b32 s7, s13, 2
	;; [unrolled: 1-line block ×4, first 2 shown]
	s_and_b32 s6, s6, 28
	s_and_b32 s7, s7, 28
	;; [unrolled: 1-line block ×4, first 2 shown]
	v_lshlrev_b64 v[0:1], 3, v[0:1]
	v_add_co_u32 v0, vcc_lo, s2, v0
	v_add_co_ci_u32_e64 v1, null, s3, v1, vcc_lo
	s_waitcnt vmcnt(7)
	v_lshrrev_b64 v[17:18], s0, v[17:18]
	s_waitcnt vmcnt(6)
	v_lshrrev_b64 v[2:3], s1, v[3:4]
	;; [unrolled: 2-line block ×7, first 2 shown]
	v_lshlrev_b64 v[2:3], 4, v[2:3]
	v_lshlrev_b64 v[4:5], 8, v[4:5]
	;; [unrolled: 1-line block ×3, first 2 shown]
	s_waitcnt vmcnt(0)
	v_lshrrev_b64 v[14:15], s9, v[15:16]
	v_and_b32_e32 v16, 15, v18
	v_and_b32_e32 v17, 15, v17
	;; [unrolled: 1-line block ×4, first 2 shown]
	v_lshlrev_b64 v[8:9], 16, v[8:9]
	v_lshlrev_b64 v[10:11], 20, v[10:11]
	v_and_b32_e32 v5, 0xf00, v5
	v_and_b32_e32 v4, 0xf00, v4
	;; [unrolled: 1-line block ×4, first 2 shown]
	v_or_b32_e32 v3, v3, v16
	v_or_b32_e32 v2, v2, v17
	v_lshlrev_b64 v[12:13], 24, v[12:13]
	v_lshlrev_b64 v[14:15], 28, v[14:15]
	v_and_b32_e32 v9, 0xf0000, v9
	v_and_b32_e32 v8, 0xf0000, v8
	;; [unrolled: 1-line block ×4, first 2 shown]
	v_or3_b32 v3, v5, v3, v7
	v_or3_b32 v2, v4, v2, v6
	v_and_b32_e32 v4, 0xf000000, v13
	v_and_b32_e32 v5, 0xf000000, v12
	;; [unrolled: 1-line block ×3, first 2 shown]
	v_or3_b32 v3, v9, v3, v11
	v_or3_b32 v2, v8, v2, v10
	;; [unrolled: 1-line block ×4, first 2 shown]
	global_store_dwordx2 v[0:1], v[2:3], off
.LBB11_2:
	s_endpgm
	.section	.rodata,"a",@progbits
	.p2align	6, 0x0
	.amdhsa_kernel _ZN4vllm4gptq27make_sequential_4bit_kernelEPKjPjPKii
		.amdhsa_group_segment_fixed_size 0
		.amdhsa_private_segment_fixed_size 0
		.amdhsa_kernarg_size 28
		.amdhsa_user_sgpr_count 6
		.amdhsa_user_sgpr_private_segment_buffer 1
		.amdhsa_user_sgpr_dispatch_ptr 0
		.amdhsa_user_sgpr_queue_ptr 0
		.amdhsa_user_sgpr_kernarg_segment_ptr 1
		.amdhsa_user_sgpr_dispatch_id 0
		.amdhsa_user_sgpr_flat_scratch_init 0
		.amdhsa_user_sgpr_private_segment_size 0
		.amdhsa_wavefront_size32 1
		.amdhsa_uses_dynamic_stack 0
		.amdhsa_system_sgpr_private_segment_wavefront_offset 0
		.amdhsa_system_sgpr_workgroup_id_x 1
		.amdhsa_system_sgpr_workgroup_id_y 1
		.amdhsa_system_sgpr_workgroup_id_z 0
		.amdhsa_system_sgpr_workgroup_info 0
		.amdhsa_system_vgpr_workitem_id 0
		.amdhsa_next_free_vgpr 20
		.amdhsa_next_free_sgpr 22
		.amdhsa_reserve_vcc 1
		.amdhsa_reserve_flat_scratch 0
		.amdhsa_float_round_mode_32 0
		.amdhsa_float_round_mode_16_64 0
		.amdhsa_float_denorm_mode_32 3
		.amdhsa_float_denorm_mode_16_64 3
		.amdhsa_dx10_clamp 1
		.amdhsa_ieee_mode 1
		.amdhsa_fp16_overflow 0
		.amdhsa_workgroup_processor_mode 1
		.amdhsa_memory_ordered 1
		.amdhsa_forward_progress 1
		.amdhsa_shared_vgpr_count 0
		.amdhsa_exception_fp_ieee_invalid_op 0
		.amdhsa_exception_fp_denorm_src 0
		.amdhsa_exception_fp_ieee_div_zero 0
		.amdhsa_exception_fp_ieee_overflow 0
		.amdhsa_exception_fp_ieee_underflow 0
		.amdhsa_exception_fp_ieee_inexact 0
		.amdhsa_exception_int_div_zero 0
	.end_amdhsa_kernel
	.text
.Lfunc_end11:
	.size	_ZN4vllm4gptq27make_sequential_4bit_kernelEPKjPjPKii, .Lfunc_end11-_ZN4vllm4gptq27make_sequential_4bit_kernelEPKjPjPKii
                                        ; -- End function
	.set _ZN4vllm4gptq27make_sequential_4bit_kernelEPKjPjPKii.num_vgpr, 20
	.set _ZN4vllm4gptq27make_sequential_4bit_kernelEPKjPjPKii.num_agpr, 0
	.set _ZN4vllm4gptq27make_sequential_4bit_kernelEPKjPjPKii.numbered_sgpr, 22
	.set _ZN4vllm4gptq27make_sequential_4bit_kernelEPKjPjPKii.num_named_barrier, 0
	.set _ZN4vllm4gptq27make_sequential_4bit_kernelEPKjPjPKii.private_seg_size, 0
	.set _ZN4vllm4gptq27make_sequential_4bit_kernelEPKjPjPKii.uses_vcc, 1
	.set _ZN4vllm4gptq27make_sequential_4bit_kernelEPKjPjPKii.uses_flat_scratch, 0
	.set _ZN4vllm4gptq27make_sequential_4bit_kernelEPKjPjPKii.has_dyn_sized_stack, 0
	.set _ZN4vllm4gptq27make_sequential_4bit_kernelEPKjPjPKii.has_recursion, 0
	.set _ZN4vllm4gptq27make_sequential_4bit_kernelEPKjPjPKii.has_indirect_call, 0
	.section	.AMDGPU.csdata,"",@progbits
; Kernel info:
; codeLenInByte = 912
; TotalNumSgprs: 24
; NumVgprs: 20
; ScratchSize: 0
; MemoryBound: 0
; FloatMode: 240
; IeeeMode: 1
; LDSByteSize: 0 bytes/workgroup (compile time only)
; SGPRBlocks: 0
; VGPRBlocks: 2
; NumSGPRsForWavesPerEU: 24
; NumVGPRsForWavesPerEU: 20
; Occupancy: 16
; WaveLimiterHint : 1
; COMPUTE_PGM_RSRC2:SCRATCH_EN: 0
; COMPUTE_PGM_RSRC2:USER_SGPR: 6
; COMPUTE_PGM_RSRC2:TRAP_HANDLER: 0
; COMPUTE_PGM_RSRC2:TGID_X_EN: 1
; COMPUTE_PGM_RSRC2:TGID_Y_EN: 1
; COMPUTE_PGM_RSRC2:TGID_Z_EN: 0
; COMPUTE_PGM_RSRC2:TIDIG_COMP_CNT: 0
	.text
	.protected	_ZN4vllm4gptq27make_sequential_2bit_kernelEPKjPjPKii ; -- Begin function _ZN4vllm4gptq27make_sequential_2bit_kernelEPKjPjPKii
	.globl	_ZN4vllm4gptq27make_sequential_2bit_kernelEPKjPjPKii
	.p2align	8
	.type	_ZN4vllm4gptq27make_sequential_2bit_kernelEPKjPjPKii,@function
_ZN4vllm4gptq27make_sequential_2bit_kernelEPKjPjPKii: ; @_ZN4vllm4gptq27make_sequential_2bit_kernelEPKjPjPKii
; %bb.0:
	s_load_dword s0, s[4:5], 0x18
	v_lshl_add_u32 v0, s6, 5, v0
	s_waitcnt lgkmcnt(0)
	s_ashr_i32 s6, s0, 1
	s_mov_b32 s0, exec_lo
	v_cmpx_gt_u32_e64 s6, v0
	s_cbranch_execz .LBB12_2
; %bb.1:
	s_load_dwordx2 s[0:1], s[4:5], 0x10
	s_lshl_b32 s2, s7, 4
	s_ashr_i32 s3, s2, 31
	s_lshl_b64 s[2:3], s[2:3], 2
	s_waitcnt lgkmcnt(0)
	s_add_u32 s0, s0, s2
	s_addc_u32 s1, s1, s3
	s_load_dwordx16 s[8:23], s[0:1], 0x0
	s_load_dwordx4 s[0:3], s[4:5], 0x0
	s_waitcnt lgkmcnt(0)
	s_ashr_i32 s4, s8, 4
	s_ashr_i32 s5, s9, 4
	v_mad_u64_u32 v[1:2], null, s4, s6, v[0:1]
	v_mov_b32_e32 v2, 0
	s_ashr_i32 s24, s10, 4
	s_ashr_i32 s25, s11, 4
	;; [unrolled: 1-line block ×5, first 2 shown]
	v_mad_u64_u32 v[3:4], null, s5, s6, v[0:1]
	v_mad_u64_u32 v[5:6], null, s24, s6, v[0:1]
	v_mov_b32_e32 v4, v2
	v_mad_u64_u32 v[7:8], null, s25, s6, v[0:1]
	v_mad_u64_u32 v[15:16], null, s29, s6, v[0:1]
	v_mov_b32_e32 v6, v2
	v_lshlrev_b64 v[16:17], 3, v[1:2]
	v_mov_b32_e32 v8, v2
	v_lshlrev_b64 v[3:4], 3, v[3:4]
	v_mad_u64_u32 v[9:10], null, s26, s6, v[0:1]
	v_lshlrev_b64 v[5:6], 3, v[5:6]
	v_lshlrev_b64 v[7:8], 3, v[7:8]
	v_add_co_u32 v16, vcc_lo, s0, v16
	v_add_co_ci_u32_e64 v17, null, s1, v17, vcc_lo
	v_add_co_u32 v3, vcc_lo, s0, v3
	s_ashr_i32 s28, s14, 4
	v_mad_u64_u32 v[11:12], null, s27, s6, v[0:1]
	v_mov_b32_e32 v10, v2
	v_add_co_ci_u32_e64 v4, null, s1, v4, vcc_lo
	v_add_co_u32 v5, vcc_lo, s0, v5
	v_mad_u64_u32 v[13:14], null, s28, s6, v[0:1]
	v_mov_b32_e32 v12, v2
	v_add_co_ci_u32_e64 v6, null, s1, v6, vcc_lo
	v_add_co_u32 v7, vcc_lo, s0, v7
	s_ashr_i32 s4, s16, 4
	v_mov_b32_e32 v14, v2
	v_add_co_ci_u32_e64 v8, null, s1, v8, vcc_lo
	v_lshlrev_b64 v[9:10], 3, v[9:10]
	v_mad_u64_u32 v[19:20], null, s4, s6, v[0:1]
	s_ashr_i32 s4, s17, 4
	s_clause 0x3
	global_load_dwordx2 v[17:18], v[16:17], off
	global_load_dwordx2 v[3:4], v[3:4], off
	;; [unrolled: 1-line block ×4, first 2 shown]
	v_mov_b32_e32 v16, v2
	v_lshlrev_b64 v[11:12], 3, v[11:12]
	v_mad_u64_u32 v[21:22], null, s4, s6, v[0:1]
	s_ashr_i32 s4, s18, 4
	v_mov_b32_e32 v20, v2
	v_lshlrev_b64 v[13:14], 3, v[13:14]
	v_mad_u64_u32 v[23:24], null, s4, s6, v[0:1]
	s_ashr_i32 s4, s19, 4
	v_mov_b32_e32 v22, v2
	v_add_co_u32 v9, vcc_lo, s0, v9
	v_lshlrev_b64 v[15:16], 3, v[15:16]
	v_mad_u64_u32 v[25:26], null, s4, s6, v[0:1]
	s_ashr_i32 s4, s20, 4
	v_mov_b32_e32 v24, v2
	v_add_co_ci_u32_e64 v10, null, s1, v10, vcc_lo
	v_add_co_u32 v11, vcc_lo, s0, v11
	v_lshlrev_b64 v[19:20], 3, v[19:20]
	v_mad_u64_u32 v[27:28], null, s4, s6, v[0:1]
	s_ashr_i32 s4, s21, 4
	v_mov_b32_e32 v26, v2
	v_add_co_ci_u32_e64 v12, null, s1, v12, vcc_lo
	;; [unrolled: 6-line block ×4, first 2 shown]
	v_add_co_u32 v19, vcc_lo, s0, v19
	v_lshlrev_b64 v[25:26], 3, v[25:26]
	v_mad_u64_u32 v[33:34], null, s4, s6, v[0:1]
	v_mov_b32_e32 v32, v2
	v_add_co_ci_u32_e64 v20, null, s1, v20, vcc_lo
	v_add_co_u32 v21, vcc_lo, s0, v21
	v_lshlrev_b64 v[27:28], 3, v[27:28]
	s_clause 0x3
	global_load_dwordx2 v[9:10], v[9:10], off
	global_load_dwordx2 v[11:12], v[11:12], off
	;; [unrolled: 1-line block ×4, first 2 shown]
	v_mov_b32_e32 v34, v2
	v_add_co_ci_u32_e64 v22, null, s1, v22, vcc_lo
	v_add_co_u32 v23, vcc_lo, s0, v23
	v_lshlrev_b64 v[29:30], 3, v[29:30]
	v_add_co_ci_u32_e64 v24, null, s1, v24, vcc_lo
	v_add_co_u32 v25, vcc_lo, s0, v25
	v_lshlrev_b64 v[31:32], 3, v[31:32]
	;; [unrolled: 3-line block ×3, first 2 shown]
	v_add_co_ci_u32_e64 v28, null, s1, v28, vcc_lo
	v_add_co_u32 v29, vcc_lo, s0, v29
	v_add_co_ci_u32_e64 v30, null, s1, v30, vcc_lo
	v_add_co_u32 v31, vcc_lo, s0, v31
	;; [unrolled: 2-line block ×3, first 2 shown]
	v_add_co_ci_u32_e64 v34, null, s1, v34, vcc_lo
	s_clause 0x7
	global_load_dwordx2 v[19:20], v[19:20], off
	global_load_dwordx2 v[21:22], v[21:22], off
	;; [unrolled: 1-line block ×8, first 2 shown]
	s_lshl_b32 s1, s9, 1
	v_mad_u64_u32 v[0:1], null, s6, s7, v[0:1]
	s_and_b32 s1, s1, 30
	v_mov_b32_e32 v1, v2
	s_lshl_b32 s4, s10, 1
	s_lshl_b32 s5, s11, 1
	;; [unrolled: 1-line block ×3, first 2 shown]
	s_and_b32 s4, s4, 30
	s_and_b32 s5, s5, 30
	;; [unrolled: 1-line block ×3, first 2 shown]
	s_lshl_b32 s6, s12, 1
	s_lshl_b32 s7, s13, 1
	s_and_b32 s6, s6, 30
	s_and_b32 s7, s7, 30
	s_lshl_b32 s8, s14, 1
	s_lshl_b32 s9, s15, 1
	s_and_b32 s8, s8, 30
	s_and_b32 s9, s9, 30
	;; [unrolled: 4-line block ×6, first 2 shown]
	v_lshlrev_b64 v[0:1], 3, v[0:1]
	v_add_co_u32 v0, vcc_lo, s2, v0
	v_add_co_ci_u32_e64 v1, null, s3, v1, vcc_lo
	s_waitcnt vmcnt(15)
	v_lshrrev_b64 v[17:18], s0, v[17:18]
	s_waitcnt vmcnt(14)
	v_lshrrev_b64 v[2:3], s1, v[3:4]
	;; [unrolled: 2-line block ×4, first 2 shown]
	v_and_b32_e32 v35, 3, v18
	v_lshlrev_b64 v[2:3], 2, v[2:3]
	v_lshlrev_b64 v[4:5], 4, v[4:5]
	;; [unrolled: 1-line block ×3, first 2 shown]
	v_and_b32_e32 v36, 3, v17
	v_and_b32_e32 v3, 12, v3
	;; [unrolled: 1-line block ×7, first 2 shown]
	v_or_b32_e32 v3, v3, v35
	v_or_b32_e32 v2, v2, v36
	v_or3_b32 v3, v5, v3, v7
	v_or3_b32 v2, v4, v2, v6
	s_waitcnt vmcnt(11)
	v_lshrrev_b64 v[8:9], s6, v[9:10]
	s_waitcnt vmcnt(10)
	v_lshrrev_b64 v[10:11], s7, v[11:12]
	;; [unrolled: 2-line block ×4, first 2 shown]
	v_lshlrev_b64 v[8:9], 8, v[8:9]
	v_lshlrev_b64 v[10:11], 10, v[10:11]
	;; [unrolled: 1-line block ×4, first 2 shown]
	v_and_b32_e32 v9, 0x300, v9
	v_and_b32_e32 v8, 0x300, v8
	;; [unrolled: 1-line block ×8, first 2 shown]
	v_or3_b32 v3, v9, v3, v11
	v_or3_b32 v2, v8, v2, v10
	;; [unrolled: 1-line block ×4, first 2 shown]
	s_waitcnt vmcnt(7)
	v_lshrrev_b64 v[19:20], s10, v[19:20]
	s_waitcnt vmcnt(6)
	v_lshrrev_b64 v[21:22], s11, v[21:22]
	;; [unrolled: 2-line block ×6, first 2 shown]
	v_lshlrev_b64 v[16:17], 16, v[19:20]
	v_lshlrev_b64 v[18:19], 18, v[21:22]
	;; [unrolled: 1-line block ×4, first 2 shown]
	s_waitcnt vmcnt(1)
	v_lshrrev_b64 v[31:32], s16, v[31:32]
	s_waitcnt vmcnt(0)
	v_lshrrev_b64 v[33:34], s17, v[33:34]
	v_and_b32_e32 v4, 0x30000, v17
	v_and_b32_e32 v5, 0x30000, v16
	;; [unrolled: 1-line block ×4, first 2 shown]
	v_lshlrev_b64 v[24:25], 24, v[27:28]
	v_lshlrev_b64 v[26:27], 26, v[29:30]
	v_and_b32_e32 v8, 0x300000, v21
	v_and_b32_e32 v9, 0x300000, v20
	;; [unrolled: 1-line block ×4, first 2 shown]
	v_or3_b32 v3, v4, v3, v6
	v_or3_b32 v2, v5, v2, v7
	v_lshlrev_b64 v[28:29], 28, v[31:32]
	v_lshlrev_b64 v[30:31], 30, v[33:34]
	v_and_b32_e32 v12, 0x3000000, v25
	v_and_b32_e32 v4, 0x3000000, v24
	v_and_b32_e32 v5, 0xc000000, v27
	v_and_b32_e32 v6, 0xc000000, v26
	v_or3_b32 v3, v8, v3, v10
	v_or3_b32 v2, v9, v2, v11
	v_and_b32_e32 v7, 0x30000000, v29
	v_and_b32_e32 v8, 0x30000000, v28
	v_and_b32_e32 v9, -2.0, v31
	v_or3_b32 v3, v12, v3, v5
	v_or3_b32 v2, v4, v2, v6
	;; [unrolled: 1-line block ×4, first 2 shown]
	global_store_dwordx2 v[0:1], v[2:3], off
.LBB12_2:
	s_endpgm
	.section	.rodata,"a",@progbits
	.p2align	6, 0x0
	.amdhsa_kernel _ZN4vllm4gptq27make_sequential_2bit_kernelEPKjPjPKii
		.amdhsa_group_segment_fixed_size 0
		.amdhsa_private_segment_fixed_size 0
		.amdhsa_kernarg_size 28
		.amdhsa_user_sgpr_count 6
		.amdhsa_user_sgpr_private_segment_buffer 1
		.amdhsa_user_sgpr_dispatch_ptr 0
		.amdhsa_user_sgpr_queue_ptr 0
		.amdhsa_user_sgpr_kernarg_segment_ptr 1
		.amdhsa_user_sgpr_dispatch_id 0
		.amdhsa_user_sgpr_flat_scratch_init 0
		.amdhsa_user_sgpr_private_segment_size 0
		.amdhsa_wavefront_size32 1
		.amdhsa_uses_dynamic_stack 0
		.amdhsa_system_sgpr_private_segment_wavefront_offset 0
		.amdhsa_system_sgpr_workgroup_id_x 1
		.amdhsa_system_sgpr_workgroup_id_y 1
		.amdhsa_system_sgpr_workgroup_id_z 0
		.amdhsa_system_sgpr_workgroup_info 0
		.amdhsa_system_vgpr_workitem_id 0
		.amdhsa_next_free_vgpr 37
		.amdhsa_next_free_sgpr 30
		.amdhsa_reserve_vcc 1
		.amdhsa_reserve_flat_scratch 0
		.amdhsa_float_round_mode_32 0
		.amdhsa_float_round_mode_16_64 0
		.amdhsa_float_denorm_mode_32 3
		.amdhsa_float_denorm_mode_16_64 3
		.amdhsa_dx10_clamp 1
		.amdhsa_ieee_mode 1
		.amdhsa_fp16_overflow 0
		.amdhsa_workgroup_processor_mode 1
		.amdhsa_memory_ordered 1
		.amdhsa_forward_progress 1
		.amdhsa_shared_vgpr_count 0
		.amdhsa_exception_fp_ieee_invalid_op 0
		.amdhsa_exception_fp_denorm_src 0
		.amdhsa_exception_fp_ieee_div_zero 0
		.amdhsa_exception_fp_ieee_overflow 0
		.amdhsa_exception_fp_ieee_underflow 0
		.amdhsa_exception_fp_ieee_inexact 0
		.amdhsa_exception_int_div_zero 0
	.end_amdhsa_kernel
	.text
.Lfunc_end12:
	.size	_ZN4vllm4gptq27make_sequential_2bit_kernelEPKjPjPKii, .Lfunc_end12-_ZN4vllm4gptq27make_sequential_2bit_kernelEPKjPjPKii
                                        ; -- End function
	.set _ZN4vllm4gptq27make_sequential_2bit_kernelEPKjPjPKii.num_vgpr, 37
	.set _ZN4vllm4gptq27make_sequential_2bit_kernelEPKjPjPKii.num_agpr, 0
	.set _ZN4vllm4gptq27make_sequential_2bit_kernelEPKjPjPKii.numbered_sgpr, 30
	.set _ZN4vllm4gptq27make_sequential_2bit_kernelEPKjPjPKii.num_named_barrier, 0
	.set _ZN4vllm4gptq27make_sequential_2bit_kernelEPKjPjPKii.private_seg_size, 0
	.set _ZN4vllm4gptq27make_sequential_2bit_kernelEPKjPjPKii.uses_vcc, 1
	.set _ZN4vllm4gptq27make_sequential_2bit_kernelEPKjPjPKii.uses_flat_scratch, 0
	.set _ZN4vllm4gptq27make_sequential_2bit_kernelEPKjPjPKii.has_dyn_sized_stack, 0
	.set _ZN4vllm4gptq27make_sequential_2bit_kernelEPKjPjPKii.has_recursion, 0
	.set _ZN4vllm4gptq27make_sequential_2bit_kernelEPKjPjPKii.has_indirect_call, 0
	.section	.AMDGPU.csdata,"",@progbits
; Kernel info:
; codeLenInByte = 1700
; TotalNumSgprs: 32
; NumVgprs: 37
; ScratchSize: 0
; MemoryBound: 0
; FloatMode: 240
; IeeeMode: 1
; LDSByteSize: 0 bytes/workgroup (compile time only)
; SGPRBlocks: 0
; VGPRBlocks: 4
; NumSGPRsForWavesPerEU: 32
; NumVGPRsForWavesPerEU: 37
; Occupancy: 16
; WaveLimiterHint : 1
; COMPUTE_PGM_RSRC2:SCRATCH_EN: 0
; COMPUTE_PGM_RSRC2:USER_SGPR: 6
; COMPUTE_PGM_RSRC2:TRAP_HANDLER: 0
; COMPUTE_PGM_RSRC2:TGID_X_EN: 1
; COMPUTE_PGM_RSRC2:TGID_Y_EN: 1
; COMPUTE_PGM_RSRC2:TGID_Z_EN: 0
; COMPUTE_PGM_RSRC2:TIDIG_COMP_CNT: 0
	.text
	.protected	_ZN4vllm4gptq27make_sequential_3bit_kernelEPKjPjPKii ; -- Begin function _ZN4vllm4gptq27make_sequential_3bit_kernelEPKjPjPKii
	.globl	_ZN4vllm4gptq27make_sequential_3bit_kernelEPKjPjPKii
	.p2align	8
	.type	_ZN4vllm4gptq27make_sequential_3bit_kernelEPKjPjPKii,@function
_ZN4vllm4gptq27make_sequential_3bit_kernelEPKjPjPKii: ; @_ZN4vllm4gptq27make_sequential_3bit_kernelEPKjPjPKii
; %bb.0:
	s_load_dword s10, s[4:5], 0x18
	v_lshl_add_u32 v0, s6, 5, v0
	s_mov_b32 s0, exec_lo
	s_waitcnt lgkmcnt(0)
	v_cmpx_gt_u32_e64 s10, v0
	s_cbranch_execz .LBB13_801
; %bb.1:
	s_clause 0x1
	s_load_dwordx4 s[0:3], s[4:5], 0x0
	s_load_dwordx2 s[4:5], s[4:5], 0x10
	s_lshl_b32 s8, s7, 5
	s_mov_b32 s9, 0
	s_lshl_b64 s[12:13], s[8:9], 2
	s_waitcnt lgkmcnt(0)
	s_add_u32 s4, s4, s12
	s_addc_u32 s5, s5, s13
	s_load_dword s6, s[4:5], 0x0
	s_waitcnt lgkmcnt(0)
	s_ashr_i32 s8, s6, 31
	s_lshr_b32 s8, s8, 27
	s_add_i32 s11, s6, s8
	s_and_b32 s8, s11, 0xffffffe0
	s_ashr_i32 s11, s11, 5
	s_sub_i32 s8, s6, s8
	s_mul_i32 s11, s11, 3
	s_cmp_lt_i32 s8, 21
	s_cbranch_scc1 .LBB13_4
; %bb.2:
	s_cmp_eq_u32 s8, 21
	s_cbranch_scc0 .LBB13_5
; %bb.3:
	s_add_i32 s6, s11, 1
	s_branch .LBB13_6
.LBB13_4:
                                        ; implicit-def: $sgpr6
	s_cbranch_execnz .LBB13_7
	s_branch .LBB13_8
.LBB13_5:
	s_mov_b32 s9, -1
                                        ; implicit-def: $sgpr6
.LBB13_6:
	s_branch .LBB13_8
.LBB13_7:
	s_cmp_lg_u32 s8, 10
	s_mov_b32 s6, s11
	s_cselect_b32 s9, -1, 0
.LBB13_8:
	s_andn2_b32 vcc_lo, exec_lo, s9
                                        ; implicit-def: $sgpr9
	s_cbranch_vccnz .LBB13_15
; %bb.9:
	s_cmp_lt_i32 s8, 22
	s_mul_i32 s12, s8, 3
	s_cbranch_scc0 .LBB13_13
; %bb.10:
	s_cmp_lt_i32 s8, 11
	s_mov_b32 s9, s12
	s_mov_b32 s6, s11
	s_cbranch_scc1 .LBB13_12
; %bb.11:
	s_sub_i32 s9, s12, 32
	s_add_i32 s6, s11, 1
.LBB13_12:
	s_cbranch_execz .LBB13_14
	s_branch .LBB13_15
.LBB13_13:
                                        ; implicit-def: $sgpr9
                                        ; implicit-def: $sgpr6
.LBB13_14:
	s_sub_i32 s9, s12, 64
	s_add_i32 s6, s11, 2
.LBB13_15:
	v_mad_u64_u32 v[1:2], null, s6, s10, v[0:1]
	v_mov_b32_e32 v2, 0
	s_cmp_lt_i32 s8, 21
	s_mov_b32 s11, 0
	v_lshlrev_b64 v[1:2], 2, v[1:2]
	v_add_co_u32 v1, vcc_lo, s0, v1
	v_add_co_ci_u32_e64 v2, null, s1, v2, vcc_lo
	global_load_dword v1, v[1:2], off
	s_cbranch_scc1 .LBB13_18
; %bb.16:
	s_cmp_eq_u32 s8, 21
	s_cbranch_scc0 .LBB13_19
; %bb.17:
	s_add_i32 s12, s6, 1
	s_waitcnt vmcnt(0)
	v_mad_u64_u32 v[2:3], null, s12, s10, v[0:1]
	v_mov_b32_e32 v3, 0
	s_mov_b32 s12, 0
	v_lshlrev_b64 v[2:3], 2, v[2:3]
	v_add_co_u32 v2, vcc_lo, s0, v2
	v_add_co_ci_u32_e64 v3, null, s1, v3, vcc_lo
	global_load_dword v2, v[2:3], off
	s_waitcnt vmcnt(0)
	v_alignbit_b32 v2, v2, v1, 31
	v_and_b32_e32 v5, 7, v2
	s_branch .LBB13_20
.LBB13_18:
	s_mov_b32 s12, 0
                                        ; implicit-def: $vgpr5
	s_cbranch_execnz .LBB13_21
	s_branch .LBB13_22
.LBB13_19:
	s_mov_b32 s12, -1
                                        ; implicit-def: $vgpr5
.LBB13_20:
	s_branch .LBB13_22
.LBB13_21:
	s_cmp_lg_u32 s8, 10
	s_mov_b32 s11, -1
	s_cselect_b32 s12, -1, 0
.LBB13_22:
	s_andn2_b32 vcc_lo, exec_lo, s12
	s_cbranch_vccz .LBB13_28
; %bb.23:
	s_andn2_b32 vcc_lo, exec_lo, s11
	s_cbranch_vccnz .LBB13_25
.LBB13_24:
	s_add_i32 s6, s6, 1
	s_waitcnt vmcnt(0)
	v_mad_u64_u32 v[2:3], null, s6, s10, v[0:1]
	v_mov_b32_e32 v3, 0
	v_lshlrev_b64 v[2:3], 2, v[2:3]
	v_add_co_u32 v2, vcc_lo, s0, v2
	v_add_co_ci_u32_e64 v3, null, s1, v3, vcc_lo
	global_load_dword v2, v[2:3], off
	s_waitcnt vmcnt(0)
	v_alignbit_b32 v1, v2, v1, 30
	v_and_b32_e32 v5, 7, v1
.LBB13_25:
	s_load_dword s6, s[4:5], 0x4
	s_waitcnt lgkmcnt(0)
	s_ashr_i32 s8, s6, 31
	s_lshr_b32 s8, s8, 27
	s_add_i32 s9, s6, s8
	s_and_b32 s8, s9, 0xffffffe0
	s_ashr_i32 s11, s9, 5
	s_sub_i32 s8, s6, s8
	s_mul_i32 s11, s11, 3
	s_cmp_lt_i32 s8, 21
	s_cbranch_scc1 .LBB13_29
; %bb.26:
	s_cmp_eq_u32 s8, 21
	s_cbranch_scc0 .LBB13_30
; %bb.27:
	s_add_i32 s6, s11, 1
	s_mov_b32 s9, 0
	s_branch .LBB13_31
.LBB13_28:
	v_mov_b32_e32 v2, 0
	s_waitcnt vmcnt(0)
	v_lshrrev_b64 v[2:3], s9, v[1:2]
	v_and_b32_e32 v5, 7, v2
	s_cbranch_execz .LBB13_24
	s_branch .LBB13_25
.LBB13_29:
	s_mov_b32 s9, 0
                                        ; implicit-def: $sgpr6
	s_cbranch_execnz .LBB13_32
	s_branch .LBB13_33
.LBB13_30:
	s_mov_b32 s9, -1
                                        ; implicit-def: $sgpr6
.LBB13_31:
	s_branch .LBB13_33
.LBB13_32:
	s_cmp_lg_u32 s8, 10
	s_mov_b32 s6, s11
	s_cselect_b32 s9, -1, 0
.LBB13_33:
	s_andn2_b32 vcc_lo, exec_lo, s9
	s_mov_b32 s9, 0
	s_cbranch_vccnz .LBB13_40
; %bb.34:
	s_cmp_gt_i32 s8, 21
	s_mul_i32 s12, s8, 3
	s_cbranch_scc1 .LBB13_38
; %bb.35:
	s_cmp_lt_i32 s8, 11
	s_mov_b32 s9, s12
	s_mov_b32 s6, s11
	s_cbranch_scc1 .LBB13_37
; %bb.36:
	s_sub_i32 s9, s12, 32
	s_add_i32 s6, s11, 1
.LBB13_37:
	s_cbranch_execz .LBB13_39
	s_branch .LBB13_40
.LBB13_38:
                                        ; implicit-def: $sgpr9
                                        ; implicit-def: $sgpr6
.LBB13_39:
	s_sub_i32 s9, s12, 64
	s_add_i32 s6, s11, 2
.LBB13_40:
	s_waitcnt vmcnt(0)
	v_mad_u64_u32 v[1:2], null, s6, s10, v[0:1]
	v_mov_b32_e32 v2, 0
	s_cmp_lt_i32 s8, 21
	s_mov_b32 s11, 0
	v_lshlrev_b64 v[1:2], 2, v[1:2]
	v_add_co_u32 v1, vcc_lo, s0, v1
	v_add_co_ci_u32_e64 v2, null, s1, v2, vcc_lo
	global_load_dword v1, v[1:2], off
	s_cbranch_scc1 .LBB13_43
; %bb.41:
	s_cmp_eq_u32 s8, 21
	s_cbranch_scc0 .LBB13_44
; %bb.42:
	s_add_i32 s12, s6, 1
	s_waitcnt vmcnt(0)
	v_mad_u64_u32 v[2:3], null, s12, s10, v[0:1]
	v_mov_b32_e32 v3, 0
	s_mov_b32 s12, 0
	v_lshlrev_b64 v[2:3], 2, v[2:3]
	v_add_co_u32 v2, vcc_lo, s0, v2
	v_add_co_ci_u32_e64 v3, null, s1, v3, vcc_lo
	global_load_dword v2, v[2:3], off
	s_waitcnt vmcnt(0)
	v_alignbit_b32 v2, v2, v1, 31
	v_and_b32_e32 v6, 7, v2
	s_branch .LBB13_45
.LBB13_43:
	s_mov_b32 s12, 0
                                        ; implicit-def: $vgpr6
	s_cbranch_execnz .LBB13_46
	s_branch .LBB13_47
.LBB13_44:
	s_mov_b32 s12, -1
                                        ; implicit-def: $vgpr6
.LBB13_45:
	s_branch .LBB13_47
.LBB13_46:
	s_cmp_lg_u32 s8, 10
	s_mov_b32 s11, -1
	s_cselect_b32 s12, -1, 0
.LBB13_47:
	s_andn2_b32 vcc_lo, exec_lo, s12
	s_cbranch_vccz .LBB13_53
; %bb.48:
	s_andn2_b32 vcc_lo, exec_lo, s11
	s_cbranch_vccnz .LBB13_50
.LBB13_49:
	s_add_i32 s6, s6, 1
	s_waitcnt vmcnt(0)
	v_mad_u64_u32 v[2:3], null, s6, s10, v[0:1]
	v_mov_b32_e32 v3, 0
	v_lshlrev_b64 v[2:3], 2, v[2:3]
	v_add_co_u32 v2, vcc_lo, s0, v2
	v_add_co_ci_u32_e64 v3, null, s1, v3, vcc_lo
	global_load_dword v2, v[2:3], off
	s_waitcnt vmcnt(0)
	v_alignbit_b32 v1, v2, v1, 30
	v_and_b32_e32 v6, 7, v1
.LBB13_50:
	s_load_dword s6, s[4:5], 0x8
	s_waitcnt lgkmcnt(0)
	s_ashr_i32 s8, s6, 31
	s_lshr_b32 s8, s8, 27
	s_add_i32 s9, s6, s8
	s_and_b32 s8, s9, 0xffffffe0
	s_ashr_i32 s11, s9, 5
	s_sub_i32 s8, s6, s8
	s_mul_i32 s11, s11, 3
	s_cmp_lt_i32 s8, 21
	s_cbranch_scc1 .LBB13_54
; %bb.51:
	s_cmp_eq_u32 s8, 21
	s_cbranch_scc0 .LBB13_55
; %bb.52:
	s_add_i32 s6, s11, 1
	s_mov_b32 s9, 0
	s_branch .LBB13_56
.LBB13_53:
	v_mov_b32_e32 v2, 0
	s_waitcnt vmcnt(0)
	v_lshrrev_b64 v[2:3], s9, v[1:2]
	v_and_b32_e32 v6, 7, v2
	s_cbranch_execz .LBB13_49
	s_branch .LBB13_50
.LBB13_54:
	s_mov_b32 s9, 0
                                        ; implicit-def: $sgpr6
	s_cbranch_execnz .LBB13_57
	s_branch .LBB13_58
.LBB13_55:
	s_mov_b32 s9, -1
                                        ; implicit-def: $sgpr6
.LBB13_56:
	s_branch .LBB13_58
.LBB13_57:
	s_cmp_lg_u32 s8, 10
	s_mov_b32 s6, s11
	s_cselect_b32 s9, -1, 0
.LBB13_58:
	s_andn2_b32 vcc_lo, exec_lo, s9
	s_mov_b32 s9, 3
	s_cbranch_vccnz .LBB13_65
; %bb.59:
	s_cmp_gt_i32 s8, 21
	s_mul_i32 s12, s8, 3
	s_cbranch_scc1 .LBB13_63
; %bb.60:
	s_cmp_lt_i32 s8, 11
	s_mov_b32 s9, s12
	s_mov_b32 s6, s11
	s_cbranch_scc1 .LBB13_62
; %bb.61:
	s_sub_i32 s9, s12, 32
	s_add_i32 s6, s11, 1
.LBB13_62:
	s_cbranch_execz .LBB13_64
	s_branch .LBB13_65
.LBB13_63:
                                        ; implicit-def: $sgpr9
                                        ; implicit-def: $sgpr6
.LBB13_64:
	s_sub_i32 s9, s12, 64
	s_add_i32 s6, s11, 2
.LBB13_65:
	s_waitcnt vmcnt(0)
	v_mad_u64_u32 v[1:2], null, s6, s10, v[0:1]
	v_mov_b32_e32 v2, 0
	s_cmp_lt_i32 s8, 21
	s_mov_b32 s11, 0
	v_lshlrev_b64 v[1:2], 2, v[1:2]
	v_add_co_u32 v1, vcc_lo, s0, v1
	v_add_co_ci_u32_e64 v2, null, s1, v2, vcc_lo
	global_load_dword v1, v[1:2], off
	s_cbranch_scc1 .LBB13_68
; %bb.66:
	s_cmp_eq_u32 s8, 21
	s_cbranch_scc0 .LBB13_69
; %bb.67:
	s_add_i32 s12, s6, 1
	s_waitcnt vmcnt(0)
	v_mad_u64_u32 v[2:3], null, s12, s10, v[0:1]
	v_mov_b32_e32 v3, 0
	s_mov_b32 s12, 0
	v_lshlrev_b64 v[2:3], 2, v[2:3]
	v_add_co_u32 v2, vcc_lo, s0, v2
	v_add_co_ci_u32_e64 v3, null, s1, v3, vcc_lo
	global_load_dword v2, v[2:3], off
	s_waitcnt vmcnt(0)
	v_alignbit_b32 v2, v2, v1, 31
	v_and_b32_e32 v7, 7, v2
	s_branch .LBB13_70
.LBB13_68:
	s_mov_b32 s12, 0
                                        ; implicit-def: $vgpr7
	s_cbranch_execnz .LBB13_71
	s_branch .LBB13_72
.LBB13_69:
	s_mov_b32 s12, -1
                                        ; implicit-def: $vgpr7
.LBB13_70:
	s_branch .LBB13_72
.LBB13_71:
	s_cmp_lg_u32 s8, 10
	s_mov_b32 s11, -1
	s_cselect_b32 s12, -1, 0
.LBB13_72:
	s_andn2_b32 vcc_lo, exec_lo, s12
	s_cbranch_vccz .LBB13_78
; %bb.73:
	s_andn2_b32 vcc_lo, exec_lo, s11
	s_cbranch_vccnz .LBB13_75
.LBB13_74:
	s_add_i32 s6, s6, 1
	s_waitcnt vmcnt(0)
	v_mad_u64_u32 v[2:3], null, s6, s10, v[0:1]
	v_mov_b32_e32 v3, 0
	v_lshlrev_b64 v[2:3], 2, v[2:3]
	v_add_co_u32 v2, vcc_lo, s0, v2
	v_add_co_ci_u32_e64 v3, null, s1, v3, vcc_lo
	global_load_dword v2, v[2:3], off
	s_waitcnt vmcnt(0)
	v_alignbit_b32 v1, v2, v1, 30
	v_and_b32_e32 v7, 7, v1
.LBB13_75:
	s_load_dword s6, s[4:5], 0xc
	s_waitcnt lgkmcnt(0)
	s_ashr_i32 s8, s6, 31
	s_lshr_b32 s8, s8, 27
	s_add_i32 s9, s6, s8
	s_and_b32 s8, s9, 0xffffffe0
	s_ashr_i32 s11, s9, 5
	s_sub_i32 s8, s6, s8
	s_mul_i32 s11, s11, 3
	s_cmp_lt_i32 s8, 21
	s_cbranch_scc1 .LBB13_79
; %bb.76:
	s_cmp_eq_u32 s8, 21
	s_cbranch_scc0 .LBB13_80
; %bb.77:
	s_add_i32 s6, s11, 1
	s_mov_b32 s9, 0
	s_branch .LBB13_81
.LBB13_78:
	v_mov_b32_e32 v2, 0
	s_waitcnt vmcnt(0)
	v_lshrrev_b64 v[2:3], s9, v[1:2]
	v_and_b32_e32 v7, 7, v2
	s_cbranch_execz .LBB13_74
	s_branch .LBB13_75
.LBB13_79:
	s_mov_b32 s9, 0
                                        ; implicit-def: $sgpr6
	s_cbranch_execnz .LBB13_82
	s_branch .LBB13_83
.LBB13_80:
	s_mov_b32 s9, -1
                                        ; implicit-def: $sgpr6
.LBB13_81:
	s_branch .LBB13_83
.LBB13_82:
	s_cmp_lg_u32 s8, 10
	s_mov_b32 s6, s11
	s_cselect_b32 s9, -1, 0
.LBB13_83:
	s_andn2_b32 vcc_lo, exec_lo, s9
	s_mov_b32 s9, 6
	s_cbranch_vccnz .LBB13_90
; %bb.84:
	s_cmp_gt_i32 s8, 21
	s_mul_i32 s12, s8, 3
	s_cbranch_scc1 .LBB13_88
; %bb.85:
	s_cmp_lt_i32 s8, 11
	s_mov_b32 s9, s12
	s_mov_b32 s6, s11
	s_cbranch_scc1 .LBB13_87
; %bb.86:
	s_sub_i32 s9, s12, 32
	s_add_i32 s6, s11, 1
.LBB13_87:
	s_cbranch_execz .LBB13_89
	s_branch .LBB13_90
.LBB13_88:
                                        ; implicit-def: $sgpr9
                                        ; implicit-def: $sgpr6
.LBB13_89:
	s_sub_i32 s9, s12, 64
	s_add_i32 s6, s11, 2
.LBB13_90:
	s_waitcnt vmcnt(0)
	v_mad_u64_u32 v[1:2], null, s6, s10, v[0:1]
	v_mov_b32_e32 v2, 0
	s_cmp_lt_i32 s8, 21
	s_mov_b32 s11, 0
	v_lshlrev_b64 v[1:2], 2, v[1:2]
	v_add_co_u32 v1, vcc_lo, s0, v1
	v_add_co_ci_u32_e64 v2, null, s1, v2, vcc_lo
	global_load_dword v1, v[1:2], off
	s_cbranch_scc1 .LBB13_93
; %bb.91:
	s_cmp_eq_u32 s8, 21
	s_cbranch_scc0 .LBB13_94
; %bb.92:
	s_add_i32 s12, s6, 1
	s_waitcnt vmcnt(0)
	v_mad_u64_u32 v[2:3], null, s12, s10, v[0:1]
	v_mov_b32_e32 v3, 0
	s_mov_b32 s12, 0
	v_lshlrev_b64 v[2:3], 2, v[2:3]
	v_add_co_u32 v2, vcc_lo, s0, v2
	v_add_co_ci_u32_e64 v3, null, s1, v3, vcc_lo
	global_load_dword v2, v[2:3], off
	s_waitcnt vmcnt(0)
	v_alignbit_b32 v2, v2, v1, 31
	v_and_b32_e32 v8, 7, v2
	s_branch .LBB13_95
.LBB13_93:
	s_mov_b32 s12, 0
                                        ; implicit-def: $vgpr8
	s_cbranch_execnz .LBB13_96
	s_branch .LBB13_97
.LBB13_94:
	s_mov_b32 s12, -1
                                        ; implicit-def: $vgpr8
.LBB13_95:
	s_branch .LBB13_97
.LBB13_96:
	s_cmp_lg_u32 s8, 10
	s_mov_b32 s11, -1
	s_cselect_b32 s12, -1, 0
.LBB13_97:
	s_andn2_b32 vcc_lo, exec_lo, s12
	s_cbranch_vccz .LBB13_103
; %bb.98:
	s_andn2_b32 vcc_lo, exec_lo, s11
	s_cbranch_vccnz .LBB13_100
.LBB13_99:
	s_add_i32 s6, s6, 1
	s_waitcnt vmcnt(0)
	v_mad_u64_u32 v[2:3], null, s6, s10, v[0:1]
	v_mov_b32_e32 v3, 0
	v_lshlrev_b64 v[2:3], 2, v[2:3]
	v_add_co_u32 v2, vcc_lo, s0, v2
	v_add_co_ci_u32_e64 v3, null, s1, v3, vcc_lo
	global_load_dword v2, v[2:3], off
	s_waitcnt vmcnt(0)
	v_alignbit_b32 v1, v2, v1, 30
	v_and_b32_e32 v8, 7, v1
.LBB13_100:
	s_load_dword s6, s[4:5], 0x10
	s_waitcnt lgkmcnt(0)
	s_ashr_i32 s8, s6, 31
	s_lshr_b32 s8, s8, 27
	s_add_i32 s9, s6, s8
	s_and_b32 s8, s9, 0xffffffe0
	s_ashr_i32 s11, s9, 5
	s_sub_i32 s8, s6, s8
	s_mul_i32 s11, s11, 3
	s_cmp_lt_i32 s8, 21
	s_cbranch_scc1 .LBB13_104
; %bb.101:
	s_cmp_eq_u32 s8, 21
	s_cbranch_scc0 .LBB13_105
; %bb.102:
	s_add_i32 s6, s11, 1
	s_mov_b32 s9, 0
	s_branch .LBB13_106
.LBB13_103:
	v_mov_b32_e32 v2, 0
	s_waitcnt vmcnt(0)
	v_lshrrev_b64 v[2:3], s9, v[1:2]
	v_and_b32_e32 v8, 7, v2
	s_cbranch_execz .LBB13_99
	s_branch .LBB13_100
.LBB13_104:
	s_mov_b32 s9, 0
                                        ; implicit-def: $sgpr6
	s_cbranch_execnz .LBB13_107
	s_branch .LBB13_108
.LBB13_105:
	s_mov_b32 s9, -1
                                        ; implicit-def: $sgpr6
.LBB13_106:
	s_branch .LBB13_108
.LBB13_107:
	s_cmp_lg_u32 s8, 10
	s_mov_b32 s6, s11
	s_cselect_b32 s9, -1, 0
.LBB13_108:
	s_andn2_b32 vcc_lo, exec_lo, s9
	s_mov_b32 s9, 9
	s_cbranch_vccnz .LBB13_115
; %bb.109:
	s_cmp_gt_i32 s8, 21
	s_mul_i32 s12, s8, 3
	s_cbranch_scc1 .LBB13_113
; %bb.110:
	s_cmp_lt_i32 s8, 11
	s_mov_b32 s9, s12
	s_mov_b32 s6, s11
	s_cbranch_scc1 .LBB13_112
; %bb.111:
	s_sub_i32 s9, s12, 32
	s_add_i32 s6, s11, 1
.LBB13_112:
	s_cbranch_execz .LBB13_114
	s_branch .LBB13_115
.LBB13_113:
                                        ; implicit-def: $sgpr9
                                        ; implicit-def: $sgpr6
.LBB13_114:
	s_sub_i32 s9, s12, 64
	s_add_i32 s6, s11, 2
.LBB13_115:
	s_waitcnt vmcnt(0)
	v_mad_u64_u32 v[1:2], null, s6, s10, v[0:1]
	v_mov_b32_e32 v2, 0
	s_cmp_lt_i32 s8, 21
	s_mov_b32 s11, 0
	v_lshlrev_b64 v[1:2], 2, v[1:2]
	v_add_co_u32 v1, vcc_lo, s0, v1
	v_add_co_ci_u32_e64 v2, null, s1, v2, vcc_lo
	global_load_dword v1, v[1:2], off
	s_cbranch_scc1 .LBB13_118
; %bb.116:
	s_cmp_eq_u32 s8, 21
	s_cbranch_scc0 .LBB13_119
; %bb.117:
	s_add_i32 s12, s6, 1
	s_waitcnt vmcnt(0)
	v_mad_u64_u32 v[2:3], null, s12, s10, v[0:1]
	v_mov_b32_e32 v3, 0
	s_mov_b32 s12, 0
	v_lshlrev_b64 v[2:3], 2, v[2:3]
	v_add_co_u32 v2, vcc_lo, s0, v2
	v_add_co_ci_u32_e64 v3, null, s1, v3, vcc_lo
	global_load_dword v2, v[2:3], off
	s_waitcnt vmcnt(0)
	v_alignbit_b32 v2, v2, v1, 31
	v_and_b32_e32 v9, 7, v2
	s_branch .LBB13_120
.LBB13_118:
	s_mov_b32 s12, 0
                                        ; implicit-def: $vgpr9
	s_cbranch_execnz .LBB13_121
	s_branch .LBB13_122
.LBB13_119:
	s_mov_b32 s12, -1
                                        ; implicit-def: $vgpr9
.LBB13_120:
	s_branch .LBB13_122
.LBB13_121:
	s_cmp_lg_u32 s8, 10
	s_mov_b32 s11, -1
	s_cselect_b32 s12, -1, 0
.LBB13_122:
	s_andn2_b32 vcc_lo, exec_lo, s12
	s_cbranch_vccz .LBB13_128
; %bb.123:
	s_andn2_b32 vcc_lo, exec_lo, s11
	s_cbranch_vccnz .LBB13_125
.LBB13_124:
	s_add_i32 s6, s6, 1
	s_waitcnt vmcnt(0)
	v_mad_u64_u32 v[2:3], null, s6, s10, v[0:1]
	v_mov_b32_e32 v3, 0
	v_lshlrev_b64 v[2:3], 2, v[2:3]
	v_add_co_u32 v2, vcc_lo, s0, v2
	v_add_co_ci_u32_e64 v3, null, s1, v3, vcc_lo
	global_load_dword v2, v[2:3], off
	s_waitcnt vmcnt(0)
	v_alignbit_b32 v1, v2, v1, 30
	v_and_b32_e32 v9, 7, v1
.LBB13_125:
	s_load_dword s6, s[4:5], 0x14
	s_waitcnt lgkmcnt(0)
	s_ashr_i32 s8, s6, 31
	s_lshr_b32 s8, s8, 27
	s_add_i32 s9, s6, s8
	s_and_b32 s8, s9, 0xffffffe0
	s_ashr_i32 s11, s9, 5
	s_sub_i32 s8, s6, s8
	s_mul_i32 s11, s11, 3
	s_cmp_lt_i32 s8, 21
	s_cbranch_scc1 .LBB13_129
; %bb.126:
	s_cmp_eq_u32 s8, 21
	s_cbranch_scc0 .LBB13_130
; %bb.127:
	s_add_i32 s6, s11, 1
	s_mov_b32 s9, 0
	s_branch .LBB13_131
.LBB13_128:
	v_mov_b32_e32 v2, 0
	s_waitcnt vmcnt(0)
	v_lshrrev_b64 v[2:3], s9, v[1:2]
	v_and_b32_e32 v9, 7, v2
	s_cbranch_execz .LBB13_124
	s_branch .LBB13_125
.LBB13_129:
	s_mov_b32 s9, 0
                                        ; implicit-def: $sgpr6
	s_cbranch_execnz .LBB13_132
	s_branch .LBB13_133
.LBB13_130:
	s_mov_b32 s9, -1
                                        ; implicit-def: $sgpr6
.LBB13_131:
	s_branch .LBB13_133
.LBB13_132:
	s_cmp_lg_u32 s8, 10
	s_mov_b32 s6, s11
	s_cselect_b32 s9, -1, 0
.LBB13_133:
	s_andn2_b32 vcc_lo, exec_lo, s9
	s_mov_b32 s9, 12
	s_cbranch_vccnz .LBB13_140
; %bb.134:
	s_cmp_gt_i32 s8, 21
	s_mul_i32 s12, s8, 3
	s_cbranch_scc1 .LBB13_138
; %bb.135:
	s_cmp_lt_i32 s8, 11
	s_mov_b32 s9, s12
	s_mov_b32 s6, s11
	s_cbranch_scc1 .LBB13_137
; %bb.136:
	s_sub_i32 s9, s12, 32
	s_add_i32 s6, s11, 1
.LBB13_137:
	s_cbranch_execz .LBB13_139
	s_branch .LBB13_140
.LBB13_138:
                                        ; implicit-def: $sgpr9
                                        ; implicit-def: $sgpr6
.LBB13_139:
	s_sub_i32 s9, s12, 64
	s_add_i32 s6, s11, 2
.LBB13_140:
	s_waitcnt vmcnt(0)
	v_mad_u64_u32 v[1:2], null, s6, s10, v[0:1]
	v_mov_b32_e32 v2, 0
	s_cmp_lt_i32 s8, 21
	s_mov_b32 s11, 0
	v_lshlrev_b64 v[1:2], 2, v[1:2]
	v_add_co_u32 v1, vcc_lo, s0, v1
	v_add_co_ci_u32_e64 v2, null, s1, v2, vcc_lo
	global_load_dword v1, v[1:2], off
	s_cbranch_scc1 .LBB13_143
; %bb.141:
	s_cmp_eq_u32 s8, 21
	s_cbranch_scc0 .LBB13_144
; %bb.142:
	s_add_i32 s12, s6, 1
	s_waitcnt vmcnt(0)
	v_mad_u64_u32 v[2:3], null, s12, s10, v[0:1]
	v_mov_b32_e32 v3, 0
	s_mov_b32 s12, 0
	v_lshlrev_b64 v[2:3], 2, v[2:3]
	v_add_co_u32 v2, vcc_lo, s0, v2
	v_add_co_ci_u32_e64 v3, null, s1, v3, vcc_lo
	global_load_dword v2, v[2:3], off
	s_waitcnt vmcnt(0)
	v_alignbit_b32 v2, v2, v1, 31
	v_and_b32_e32 v10, 7, v2
	s_branch .LBB13_145
.LBB13_143:
	s_mov_b32 s12, 0
                                        ; implicit-def: $vgpr10
	s_cbranch_execnz .LBB13_146
	s_branch .LBB13_147
.LBB13_144:
	s_mov_b32 s12, -1
                                        ; implicit-def: $vgpr10
.LBB13_145:
	s_branch .LBB13_147
.LBB13_146:
	s_cmp_lg_u32 s8, 10
	s_mov_b32 s11, -1
	s_cselect_b32 s12, -1, 0
.LBB13_147:
	s_andn2_b32 vcc_lo, exec_lo, s12
	s_cbranch_vccz .LBB13_153
; %bb.148:
	s_andn2_b32 vcc_lo, exec_lo, s11
	s_cbranch_vccnz .LBB13_150
.LBB13_149:
	s_add_i32 s6, s6, 1
	s_waitcnt vmcnt(0)
	v_mad_u64_u32 v[2:3], null, s6, s10, v[0:1]
	v_mov_b32_e32 v3, 0
	v_lshlrev_b64 v[2:3], 2, v[2:3]
	v_add_co_u32 v2, vcc_lo, s0, v2
	v_add_co_ci_u32_e64 v3, null, s1, v3, vcc_lo
	global_load_dword v2, v[2:3], off
	s_waitcnt vmcnt(0)
	v_alignbit_b32 v1, v2, v1, 30
	v_and_b32_e32 v10, 7, v1
.LBB13_150:
	s_load_dword s6, s[4:5], 0x18
	s_waitcnt lgkmcnt(0)
	s_ashr_i32 s8, s6, 31
	s_lshr_b32 s8, s8, 27
	s_add_i32 s9, s6, s8
	s_and_b32 s8, s9, 0xffffffe0
	s_ashr_i32 s11, s9, 5
	s_sub_i32 s8, s6, s8
	s_mul_i32 s11, s11, 3
	s_cmp_lt_i32 s8, 21
	s_cbranch_scc1 .LBB13_154
; %bb.151:
	s_cmp_eq_u32 s8, 21
	s_cbranch_scc0 .LBB13_155
; %bb.152:
	s_add_i32 s6, s11, 1
	s_mov_b32 s9, 0
	s_branch .LBB13_156
.LBB13_153:
	v_mov_b32_e32 v2, 0
	s_waitcnt vmcnt(0)
	v_lshrrev_b64 v[2:3], s9, v[1:2]
	v_and_b32_e32 v10, 7, v2
	s_cbranch_execz .LBB13_149
	s_branch .LBB13_150
.LBB13_154:
	s_mov_b32 s9, 0
                                        ; implicit-def: $sgpr6
	s_cbranch_execnz .LBB13_157
	s_branch .LBB13_158
.LBB13_155:
	s_mov_b32 s9, -1
                                        ; implicit-def: $sgpr6
.LBB13_156:
	s_branch .LBB13_158
.LBB13_157:
	s_cmp_lg_u32 s8, 10
	s_mov_b32 s6, s11
	s_cselect_b32 s9, -1, 0
.LBB13_158:
	s_andn2_b32 vcc_lo, exec_lo, s9
	s_mov_b32 s9, 15
	s_cbranch_vccnz .LBB13_165
; %bb.159:
	s_cmp_gt_i32 s8, 21
	s_mul_i32 s12, s8, 3
	s_cbranch_scc1 .LBB13_163
; %bb.160:
	s_cmp_lt_i32 s8, 11
	s_mov_b32 s9, s12
	s_mov_b32 s6, s11
	s_cbranch_scc1 .LBB13_162
; %bb.161:
	s_sub_i32 s9, s12, 32
	s_add_i32 s6, s11, 1
.LBB13_162:
	s_cbranch_execz .LBB13_164
	s_branch .LBB13_165
.LBB13_163:
                                        ; implicit-def: $sgpr9
                                        ; implicit-def: $sgpr6
.LBB13_164:
	s_sub_i32 s9, s12, 64
	s_add_i32 s6, s11, 2
.LBB13_165:
	s_waitcnt vmcnt(0)
	v_mad_u64_u32 v[1:2], null, s6, s10, v[0:1]
	v_mov_b32_e32 v2, 0
	s_cmp_lt_i32 s8, 21
	s_mov_b32 s11, 0
	v_lshlrev_b64 v[1:2], 2, v[1:2]
	v_add_co_u32 v1, vcc_lo, s0, v1
	v_add_co_ci_u32_e64 v2, null, s1, v2, vcc_lo
	global_load_dword v1, v[1:2], off
	s_cbranch_scc1 .LBB13_168
; %bb.166:
	s_cmp_eq_u32 s8, 21
	s_cbranch_scc0 .LBB13_169
; %bb.167:
	s_add_i32 s12, s6, 1
	s_waitcnt vmcnt(0)
	v_mad_u64_u32 v[2:3], null, s12, s10, v[0:1]
	v_mov_b32_e32 v3, 0
	s_mov_b32 s12, 0
	v_lshlrev_b64 v[2:3], 2, v[2:3]
	v_add_co_u32 v2, vcc_lo, s0, v2
	v_add_co_ci_u32_e64 v3, null, s1, v3, vcc_lo
	global_load_dword v2, v[2:3], off
	s_waitcnt vmcnt(0)
	v_alignbit_b32 v2, v2, v1, 31
	v_and_b32_e32 v11, 7, v2
	s_branch .LBB13_170
.LBB13_168:
	s_mov_b32 s12, 0
                                        ; implicit-def: $vgpr11
	s_cbranch_execnz .LBB13_171
	s_branch .LBB13_172
.LBB13_169:
	s_mov_b32 s12, -1
                                        ; implicit-def: $vgpr11
.LBB13_170:
	s_branch .LBB13_172
.LBB13_171:
	s_cmp_lg_u32 s8, 10
	s_mov_b32 s11, -1
	s_cselect_b32 s12, -1, 0
.LBB13_172:
	s_andn2_b32 vcc_lo, exec_lo, s12
	s_cbranch_vccz .LBB13_178
; %bb.173:
	s_andn2_b32 vcc_lo, exec_lo, s11
	s_cbranch_vccnz .LBB13_175
.LBB13_174:
	s_add_i32 s6, s6, 1
	s_waitcnt vmcnt(0)
	v_mad_u64_u32 v[2:3], null, s6, s10, v[0:1]
	v_mov_b32_e32 v3, 0
	v_lshlrev_b64 v[2:3], 2, v[2:3]
	v_add_co_u32 v2, vcc_lo, s0, v2
	v_add_co_ci_u32_e64 v3, null, s1, v3, vcc_lo
	global_load_dword v2, v[2:3], off
	s_waitcnt vmcnt(0)
	v_alignbit_b32 v1, v2, v1, 30
	v_and_b32_e32 v11, 7, v1
.LBB13_175:
	s_load_dword s6, s[4:5], 0x1c
	s_waitcnt lgkmcnt(0)
	s_ashr_i32 s8, s6, 31
	s_lshr_b32 s8, s8, 27
	s_add_i32 s9, s6, s8
	s_and_b32 s8, s9, 0xffffffe0
	s_ashr_i32 s11, s9, 5
	s_sub_i32 s8, s6, s8
	s_mul_i32 s11, s11, 3
	s_cmp_lt_i32 s8, 21
	s_cbranch_scc1 .LBB13_179
; %bb.176:
	s_cmp_eq_u32 s8, 21
	s_cbranch_scc0 .LBB13_180
; %bb.177:
	s_add_i32 s6, s11, 1
	s_mov_b32 s9, 0
	s_branch .LBB13_181
.LBB13_178:
	v_mov_b32_e32 v2, 0
	s_waitcnt vmcnt(0)
	v_lshrrev_b64 v[2:3], s9, v[1:2]
	v_and_b32_e32 v11, 7, v2
	s_cbranch_execz .LBB13_174
	s_branch .LBB13_175
.LBB13_179:
	s_mov_b32 s9, 0
                                        ; implicit-def: $sgpr6
	s_cbranch_execnz .LBB13_182
	s_branch .LBB13_183
.LBB13_180:
	s_mov_b32 s9, -1
                                        ; implicit-def: $sgpr6
.LBB13_181:
	s_branch .LBB13_183
.LBB13_182:
	s_cmp_lg_u32 s8, 10
	s_mov_b32 s6, s11
	s_cselect_b32 s9, -1, 0
.LBB13_183:
	s_andn2_b32 vcc_lo, exec_lo, s9
	s_mov_b32 s9, 18
	s_cbranch_vccnz .LBB13_190
; %bb.184:
	s_cmp_gt_i32 s8, 21
	s_mul_i32 s12, s8, 3
	s_cbranch_scc1 .LBB13_188
; %bb.185:
	s_cmp_lt_i32 s8, 11
	s_mov_b32 s9, s12
	s_mov_b32 s6, s11
	s_cbranch_scc1 .LBB13_187
; %bb.186:
	s_sub_i32 s9, s12, 32
	s_add_i32 s6, s11, 1
.LBB13_187:
	s_cbranch_execz .LBB13_189
	s_branch .LBB13_190
.LBB13_188:
                                        ; implicit-def: $sgpr9
                                        ; implicit-def: $sgpr6
.LBB13_189:
	s_sub_i32 s9, s12, 64
	s_add_i32 s6, s11, 2
.LBB13_190:
	s_waitcnt vmcnt(0)
	v_mad_u64_u32 v[1:2], null, s6, s10, v[0:1]
	v_mov_b32_e32 v2, 0
	s_cmp_lt_i32 s8, 21
	s_mov_b32 s11, 0
	v_lshlrev_b64 v[1:2], 2, v[1:2]
	v_add_co_u32 v1, vcc_lo, s0, v1
	v_add_co_ci_u32_e64 v2, null, s1, v2, vcc_lo
	global_load_dword v1, v[1:2], off
	s_cbranch_scc1 .LBB13_193
; %bb.191:
	s_cmp_eq_u32 s8, 21
	s_cbranch_scc0 .LBB13_194
; %bb.192:
	s_add_i32 s12, s6, 1
	s_waitcnt vmcnt(0)
	v_mad_u64_u32 v[2:3], null, s12, s10, v[0:1]
	v_mov_b32_e32 v3, 0
	s_mov_b32 s12, 0
	v_lshlrev_b64 v[2:3], 2, v[2:3]
	v_add_co_u32 v2, vcc_lo, s0, v2
	v_add_co_ci_u32_e64 v3, null, s1, v3, vcc_lo
	global_load_dword v2, v[2:3], off
	s_waitcnt vmcnt(0)
	v_alignbit_b32 v2, v2, v1, 31
	v_and_b32_e32 v12, 7, v2
	s_branch .LBB13_195
.LBB13_193:
	s_mov_b32 s12, 0
                                        ; implicit-def: $vgpr12
	s_cbranch_execnz .LBB13_196
	s_branch .LBB13_197
.LBB13_194:
	s_mov_b32 s12, -1
                                        ; implicit-def: $vgpr12
.LBB13_195:
	s_branch .LBB13_197
.LBB13_196:
	s_cmp_lg_u32 s8, 10
	s_mov_b32 s11, -1
	s_cselect_b32 s12, -1, 0
.LBB13_197:
	s_andn2_b32 vcc_lo, exec_lo, s12
	s_cbranch_vccz .LBB13_203
; %bb.198:
	s_andn2_b32 vcc_lo, exec_lo, s11
	s_cbranch_vccnz .LBB13_200
.LBB13_199:
	s_add_i32 s6, s6, 1
	s_waitcnt vmcnt(0)
	v_mad_u64_u32 v[2:3], null, s6, s10, v[0:1]
	v_mov_b32_e32 v3, 0
	v_lshlrev_b64 v[2:3], 2, v[2:3]
	v_add_co_u32 v2, vcc_lo, s0, v2
	v_add_co_ci_u32_e64 v3, null, s1, v3, vcc_lo
	global_load_dword v2, v[2:3], off
	s_waitcnt vmcnt(0)
	v_alignbit_b32 v1, v2, v1, 30
	v_and_b32_e32 v12, 7, v1
.LBB13_200:
	s_load_dword s6, s[4:5], 0x20
	s_waitcnt lgkmcnt(0)
	s_ashr_i32 s8, s6, 31
	s_lshr_b32 s8, s8, 27
	s_add_i32 s9, s6, s8
	s_and_b32 s8, s9, 0xffffffe0
	s_ashr_i32 s11, s9, 5
	s_sub_i32 s8, s6, s8
	s_mul_i32 s11, s11, 3
	s_cmp_lt_i32 s8, 21
	s_cbranch_scc1 .LBB13_204
; %bb.201:
	s_cmp_eq_u32 s8, 21
	s_cbranch_scc0 .LBB13_205
; %bb.202:
	s_add_i32 s6, s11, 1
	s_mov_b32 s9, 0
	s_branch .LBB13_206
.LBB13_203:
	v_mov_b32_e32 v2, 0
	s_waitcnt vmcnt(0)
	v_lshrrev_b64 v[2:3], s9, v[1:2]
	v_and_b32_e32 v12, 7, v2
	s_cbranch_execz .LBB13_199
	s_branch .LBB13_200
.LBB13_204:
	s_mov_b32 s9, 0
                                        ; implicit-def: $sgpr6
	s_cbranch_execnz .LBB13_207
	s_branch .LBB13_208
.LBB13_205:
	s_mov_b32 s9, -1
                                        ; implicit-def: $sgpr6
.LBB13_206:
	s_branch .LBB13_208
.LBB13_207:
	s_cmp_lg_u32 s8, 10
	s_mov_b32 s6, s11
	s_cselect_b32 s9, -1, 0
.LBB13_208:
	s_andn2_b32 vcc_lo, exec_lo, s9
	s_mov_b32 s9, 21
	s_cbranch_vccnz .LBB13_215
; %bb.209:
	s_cmp_gt_i32 s8, 21
	s_mul_i32 s12, s8, 3
	s_cbranch_scc1 .LBB13_213
; %bb.210:
	s_cmp_lt_i32 s8, 11
	s_mov_b32 s9, s12
	s_mov_b32 s6, s11
	s_cbranch_scc1 .LBB13_212
; %bb.211:
	s_sub_i32 s9, s12, 32
	s_add_i32 s6, s11, 1
.LBB13_212:
	s_cbranch_execz .LBB13_214
	s_branch .LBB13_215
.LBB13_213:
                                        ; implicit-def: $sgpr9
                                        ; implicit-def: $sgpr6
.LBB13_214:
	s_sub_i32 s9, s12, 64
	s_add_i32 s6, s11, 2
.LBB13_215:
	s_waitcnt vmcnt(0)
	v_mad_u64_u32 v[1:2], null, s6, s10, v[0:1]
	v_mov_b32_e32 v2, 0
	s_cmp_lt_i32 s8, 21
	s_mov_b32 s11, 0
	v_lshlrev_b64 v[1:2], 2, v[1:2]
	v_add_co_u32 v1, vcc_lo, s0, v1
	v_add_co_ci_u32_e64 v2, null, s1, v2, vcc_lo
	global_load_dword v1, v[1:2], off
	s_cbranch_scc1 .LBB13_218
; %bb.216:
	s_cmp_eq_u32 s8, 21
	s_cbranch_scc0 .LBB13_219
; %bb.217:
	s_add_i32 s12, s6, 1
	s_waitcnt vmcnt(0)
	v_mad_u64_u32 v[2:3], null, s12, s10, v[0:1]
	v_mov_b32_e32 v3, 0
	s_mov_b32 s12, 0
	v_lshlrev_b64 v[2:3], 2, v[2:3]
	v_add_co_u32 v2, vcc_lo, s0, v2
	v_add_co_ci_u32_e64 v3, null, s1, v3, vcc_lo
	global_load_dword v2, v[2:3], off
	s_waitcnt vmcnt(0)
	v_alignbit_b32 v2, v2, v1, 31
	v_and_b32_e32 v13, 7, v2
	s_branch .LBB13_220
.LBB13_218:
	s_mov_b32 s12, 0
                                        ; implicit-def: $vgpr13
	s_cbranch_execnz .LBB13_221
	s_branch .LBB13_222
.LBB13_219:
	s_mov_b32 s12, -1
                                        ; implicit-def: $vgpr13
.LBB13_220:
	s_branch .LBB13_222
.LBB13_221:
	s_cmp_lg_u32 s8, 10
	s_mov_b32 s11, -1
	s_cselect_b32 s12, -1, 0
.LBB13_222:
	s_andn2_b32 vcc_lo, exec_lo, s12
	s_cbranch_vccz .LBB13_228
; %bb.223:
	s_andn2_b32 vcc_lo, exec_lo, s11
	s_cbranch_vccnz .LBB13_225
.LBB13_224:
	s_add_i32 s6, s6, 1
	s_waitcnt vmcnt(0)
	v_mad_u64_u32 v[2:3], null, s6, s10, v[0:1]
	v_mov_b32_e32 v3, 0
	v_lshlrev_b64 v[2:3], 2, v[2:3]
	v_add_co_u32 v2, vcc_lo, s0, v2
	v_add_co_ci_u32_e64 v3, null, s1, v3, vcc_lo
	global_load_dword v2, v[2:3], off
	s_waitcnt vmcnt(0)
	v_alignbit_b32 v1, v2, v1, 30
	v_and_b32_e32 v13, 7, v1
.LBB13_225:
	s_load_dword s6, s[4:5], 0x24
	s_waitcnt lgkmcnt(0)
	s_ashr_i32 s8, s6, 31
	s_lshr_b32 s8, s8, 27
	s_add_i32 s9, s6, s8
	s_and_b32 s8, s9, 0xffffffe0
	s_ashr_i32 s11, s9, 5
	s_sub_i32 s8, s6, s8
	s_mul_i32 s11, s11, 3
	s_cmp_lt_i32 s8, 21
	s_cbranch_scc1 .LBB13_229
; %bb.226:
	s_cmp_eq_u32 s8, 21
	s_cbranch_scc0 .LBB13_230
; %bb.227:
	s_add_i32 s6, s11, 1
	s_mov_b32 s9, 0
	s_branch .LBB13_231
.LBB13_228:
	v_mov_b32_e32 v2, 0
	s_waitcnt vmcnt(0)
	v_lshrrev_b64 v[2:3], s9, v[1:2]
	v_and_b32_e32 v13, 7, v2
	s_cbranch_execz .LBB13_224
	s_branch .LBB13_225
.LBB13_229:
	s_mov_b32 s9, 0
                                        ; implicit-def: $sgpr6
	s_cbranch_execnz .LBB13_232
	s_branch .LBB13_233
.LBB13_230:
	s_mov_b32 s9, -1
                                        ; implicit-def: $sgpr6
.LBB13_231:
	s_branch .LBB13_233
.LBB13_232:
	s_cmp_lg_u32 s8, 10
	s_mov_b32 s6, s11
	s_cselect_b32 s9, -1, 0
.LBB13_233:
	s_andn2_b32 vcc_lo, exec_lo, s9
	s_mov_b32 s9, 24
	s_cbranch_vccnz .LBB13_240
; %bb.234:
	s_cmp_gt_i32 s8, 21
	s_mul_i32 s12, s8, 3
	s_cbranch_scc1 .LBB13_238
; %bb.235:
	s_cmp_lt_i32 s8, 11
	s_mov_b32 s9, s12
	s_mov_b32 s6, s11
	s_cbranch_scc1 .LBB13_237
; %bb.236:
	s_sub_i32 s9, s12, 32
	s_add_i32 s6, s11, 1
.LBB13_237:
	s_cbranch_execz .LBB13_239
	s_branch .LBB13_240
.LBB13_238:
                                        ; implicit-def: $sgpr9
                                        ; implicit-def: $sgpr6
.LBB13_239:
	s_sub_i32 s9, s12, 64
	s_add_i32 s6, s11, 2
.LBB13_240:
	s_waitcnt vmcnt(0)
	v_mad_u64_u32 v[1:2], null, s6, s10, v[0:1]
	v_mov_b32_e32 v2, 0
	s_cmp_lt_i32 s8, 21
	s_mov_b32 s11, 0
	v_lshlrev_b64 v[1:2], 2, v[1:2]
	v_add_co_u32 v1, vcc_lo, s0, v1
	v_add_co_ci_u32_e64 v2, null, s1, v2, vcc_lo
	global_load_dword v1, v[1:2], off
	s_cbranch_scc1 .LBB13_243
; %bb.241:
	s_cmp_eq_u32 s8, 21
	s_cbranch_scc0 .LBB13_244
; %bb.242:
	s_add_i32 s12, s6, 1
	s_waitcnt vmcnt(0)
	v_mad_u64_u32 v[2:3], null, s12, s10, v[0:1]
	v_mov_b32_e32 v3, 0
	s_mov_b32 s12, 0
	v_lshlrev_b64 v[2:3], 2, v[2:3]
	v_add_co_u32 v2, vcc_lo, s0, v2
	v_add_co_ci_u32_e64 v3, null, s1, v3, vcc_lo
	global_load_dword v2, v[2:3], off
	s_waitcnt vmcnt(0)
	v_alignbit_b32 v2, v2, v1, 31
	v_and_b32_e32 v14, 7, v2
	s_branch .LBB13_245
.LBB13_243:
	s_mov_b32 s12, 0
                                        ; implicit-def: $vgpr14
	s_cbranch_execnz .LBB13_246
	s_branch .LBB13_247
.LBB13_244:
	s_mov_b32 s12, -1
                                        ; implicit-def: $vgpr14
.LBB13_245:
	s_branch .LBB13_247
.LBB13_246:
	s_cmp_lg_u32 s8, 10
	s_mov_b32 s11, -1
	s_cselect_b32 s12, -1, 0
.LBB13_247:
	s_andn2_b32 vcc_lo, exec_lo, s12
	s_cbranch_vccz .LBB13_253
; %bb.248:
	s_andn2_b32 vcc_lo, exec_lo, s11
	s_cbranch_vccnz .LBB13_250
.LBB13_249:
	s_add_i32 s6, s6, 1
	s_waitcnt vmcnt(0)
	v_mad_u64_u32 v[2:3], null, s6, s10, v[0:1]
	v_mov_b32_e32 v3, 0
	v_lshlrev_b64 v[2:3], 2, v[2:3]
	v_add_co_u32 v2, vcc_lo, s0, v2
	v_add_co_ci_u32_e64 v3, null, s1, v3, vcc_lo
	global_load_dword v2, v[2:3], off
	s_waitcnt vmcnt(0)
	v_alignbit_b32 v1, v2, v1, 30
	v_and_b32_e32 v14, 7, v1
.LBB13_250:
	s_load_dword s6, s[4:5], 0x28
	s_waitcnt lgkmcnt(0)
	s_ashr_i32 s8, s6, 31
	s_lshr_b32 s8, s8, 27
	s_add_i32 s8, s6, s8
	s_and_b32 s9, s8, 0xffffffe0
	s_ashr_i32 s11, s8, 5
	s_sub_i32 s9, s6, s9
	s_mul_i32 s11, s11, 3
	s_cmp_lt_i32 s9, 21
	s_cbranch_scc1 .LBB13_254
; %bb.251:
	s_cmp_eq_u32 s9, 21
	s_cbranch_scc0 .LBB13_255
; %bb.252:
	s_add_i32 s8, s11, 1
	s_mov_b32 s6, 0
	s_branch .LBB13_256
.LBB13_253:
	v_mov_b32_e32 v2, 0
	s_waitcnt vmcnt(0)
	v_lshrrev_b64 v[2:3], s9, v[1:2]
	v_and_b32_e32 v14, 7, v2
	s_cbranch_execz .LBB13_249
	s_branch .LBB13_250
.LBB13_254:
	s_mov_b32 s6, 0
                                        ; implicit-def: $sgpr8
	s_cbranch_execnz .LBB13_257
	s_branch .LBB13_258
.LBB13_255:
	s_mov_b32 s6, -1
                                        ; implicit-def: $sgpr8
.LBB13_256:
	s_branch .LBB13_258
.LBB13_257:
	s_cmp_lg_u32 s9, 10
	s_mov_b32 s8, s11
	s_cselect_b32 s6, -1, 0
.LBB13_258:
	s_andn2_b32 vcc_lo, exec_lo, s6
	s_mov_b32 s6, 27
	s_cbranch_vccnz .LBB13_265
; %bb.259:
	s_cmp_gt_i32 s9, 21
	s_mul_i32 s12, s9, 3
	s_cbranch_scc1 .LBB13_263
; %bb.260:
	s_cmp_lt_i32 s9, 11
	s_mov_b32 s6, s12
	s_mov_b32 s8, s11
	s_cbranch_scc1 .LBB13_262
; %bb.261:
	s_sub_i32 s6, s12, 32
	s_add_i32 s8, s11, 1
.LBB13_262:
	s_cbranch_execz .LBB13_264
	s_branch .LBB13_265
.LBB13_263:
                                        ; implicit-def: $sgpr6
                                        ; implicit-def: $sgpr8
.LBB13_264:
	s_sub_i32 s6, s12, 64
	s_add_i32 s8, s11, 2
.LBB13_265:
	s_waitcnt vmcnt(0)
	v_mad_u64_u32 v[1:2], null, s8, s10, v[0:1]
	v_mov_b32_e32 v2, 0
	s_cmp_lt_i32 s9, 21
	s_mov_b32 s11, 0
	v_lshlrev_b64 v[1:2], 2, v[1:2]
	v_add_co_u32 v1, vcc_lo, s0, v1
	v_add_co_ci_u32_e64 v2, null, s1, v2, vcc_lo
	global_load_dword v1, v[1:2], off
	s_cbranch_scc1 .LBB13_268
; %bb.266:
	s_cmp_eq_u32 s9, 21
	s_cbranch_scc0 .LBB13_269
; %bb.267:
	s_add_i32 s12, s8, 1
	s_waitcnt vmcnt(0)
	v_mad_u64_u32 v[2:3], null, s12, s10, v[0:1]
	v_mov_b32_e32 v3, 0
	s_mov_b32 s12, 0
	v_lshlrev_b64 v[2:3], 2, v[2:3]
	v_add_co_u32 v2, vcc_lo, s0, v2
	v_add_co_ci_u32_e64 v3, null, s1, v3, vcc_lo
	global_load_dword v2, v[2:3], off
	s_waitcnt vmcnt(0)
	v_alignbit_b32 v2, v2, v1, 31
	v_and_b32_e32 v15, 7, v2
	s_branch .LBB13_270
.LBB13_268:
	s_mov_b32 s12, 0
                                        ; implicit-def: $vgpr15
	s_cbranch_execnz .LBB13_271
	s_branch .LBB13_272
.LBB13_269:
	s_mov_b32 s12, -1
                                        ; implicit-def: $vgpr15
.LBB13_270:
	s_branch .LBB13_272
.LBB13_271:
	s_cmp_lg_u32 s9, 10
	s_mov_b32 s11, -1
	s_cselect_b32 s12, -1, 0
.LBB13_272:
	s_andn2_b32 vcc_lo, exec_lo, s12
	s_cbranch_vccz .LBB13_278
; %bb.273:
	s_andn2_b32 vcc_lo, exec_lo, s11
	s_cbranch_vccnz .LBB13_275
.LBB13_274:
	s_add_i32 s8, s8, 1
	s_waitcnt vmcnt(0)
	v_mad_u64_u32 v[2:3], null, s8, s10, v[0:1]
	v_mov_b32_e32 v3, 0
	v_lshlrev_b64 v[2:3], 2, v[2:3]
	v_add_co_u32 v2, vcc_lo, s0, v2
	v_add_co_ci_u32_e64 v3, null, s1, v3, vcc_lo
	global_load_dword v2, v[2:3], off
	s_waitcnt vmcnt(0)
	v_alignbit_b32 v1, v2, v1, 30
	v_and_b32_e32 v15, 7, v1
.LBB13_275:
	s_load_dword s8, s[4:5], 0x2c
	s_waitcnt lgkmcnt(0)
	s_ashr_i32 s9, s8, 31
	s_lshr_b32 s9, s9, 27
	s_add_i32 s11, s8, s9
	s_and_b32 s9, s11, 0xffffffe0
	s_ashr_i32 s11, s11, 5
	s_sub_i32 s9, s8, s9
	s_mul_i32 s11, s11, 3
	s_cmp_lt_i32 s9, 21
	s_cbranch_scc1 .LBB13_279
; %bb.276:
	s_cmp_eq_u32 s9, 21
	s_cbranch_scc0 .LBB13_280
; %bb.277:
	s_add_i32 s8, s11, 1
	s_mov_b32 s12, 0
	s_branch .LBB13_281
.LBB13_278:
	v_mov_b32_e32 v2, 0
	s_waitcnt vmcnt(0)
	v_lshrrev_b64 v[2:3], s6, v[1:2]
	v_and_b32_e32 v15, 7, v2
	s_cbranch_execz .LBB13_274
	s_branch .LBB13_275
.LBB13_279:
	s_mov_b32 s12, 0
                                        ; implicit-def: $sgpr8
	s_cbranch_execnz .LBB13_282
	s_branch .LBB13_283
.LBB13_280:
	s_mov_b32 s12, -1
                                        ; implicit-def: $sgpr8
.LBB13_281:
	s_branch .LBB13_283
.LBB13_282:
	s_cmp_lg_u32 s9, 10
	s_mov_b32 s8, s11
	s_cselect_b32 s12, -1, 0
.LBB13_283:
	s_andn2_b32 vcc_lo, exec_lo, s12
	s_cbranch_vccnz .LBB13_290
; %bb.284:
	s_cmp_gt_i32 s9, 21
	s_mul_i32 s12, s9, 3
	s_cbranch_scc1 .LBB13_288
; %bb.285:
	s_cmp_lt_i32 s9, 11
	s_mov_b32 s6, s12
	s_mov_b32 s8, s11
	s_cbranch_scc1 .LBB13_287
; %bb.286:
	s_sub_i32 s6, s12, 32
	s_add_i32 s8, s11, 1
.LBB13_287:
	s_cbranch_execz .LBB13_289
	s_branch .LBB13_290
.LBB13_288:
                                        ; implicit-def: $sgpr6
                                        ; implicit-def: $sgpr8
.LBB13_289:
	s_sub_i32 s6, s12, 64
	s_add_i32 s8, s11, 2
.LBB13_290:
	s_waitcnt vmcnt(0)
	v_mad_u64_u32 v[1:2], null, s8, s10, v[0:1]
	v_mov_b32_e32 v2, 0
	s_cmp_lt_i32 s9, 21
	s_mov_b32 s11, 0
	v_lshlrev_b64 v[1:2], 2, v[1:2]
	v_add_co_u32 v1, vcc_lo, s0, v1
	v_add_co_ci_u32_e64 v2, null, s1, v2, vcc_lo
	global_load_dword v1, v[1:2], off
	s_cbranch_scc1 .LBB13_293
; %bb.291:
	s_cmp_eq_u32 s9, 21
	s_cbranch_scc0 .LBB13_294
; %bb.292:
	s_add_i32 s12, s8, 1
	s_waitcnt vmcnt(0)
	v_mad_u64_u32 v[2:3], null, s12, s10, v[0:1]
	v_mov_b32_e32 v3, 0
	s_mov_b32 s12, 0
	v_lshlrev_b64 v[2:3], 2, v[2:3]
	v_add_co_u32 v2, vcc_lo, s0, v2
	v_add_co_ci_u32_e64 v3, null, s1, v3, vcc_lo
	global_load_dword v2, v[2:3], off
	s_waitcnt vmcnt(0)
	v_alignbit_b32 v2, v2, v1, 31
	v_and_b32_e32 v16, 7, v2
	s_branch .LBB13_295
.LBB13_293:
	s_mov_b32 s12, 0
                                        ; implicit-def: $vgpr16
	s_cbranch_execnz .LBB13_296
	s_branch .LBB13_297
.LBB13_294:
	s_mov_b32 s12, -1
                                        ; implicit-def: $vgpr16
.LBB13_295:
	s_branch .LBB13_297
.LBB13_296:
	s_cmp_lg_u32 s9, 10
	s_mov_b32 s11, -1
	s_cselect_b32 s12, -1, 0
.LBB13_297:
	s_andn2_b32 vcc_lo, exec_lo, s12
	s_cbranch_vccz .LBB13_303
; %bb.298:
	s_andn2_b32 vcc_lo, exec_lo, s11
	s_cbranch_vccnz .LBB13_300
.LBB13_299:
	s_add_i32 s6, s8, 1
	s_waitcnt vmcnt(0)
	v_mad_u64_u32 v[2:3], null, s6, s10, v[0:1]
	v_mov_b32_e32 v3, 0
	v_lshlrev_b64 v[2:3], 2, v[2:3]
	v_add_co_u32 v2, vcc_lo, s0, v2
	v_add_co_ci_u32_e64 v3, null, s1, v3, vcc_lo
	global_load_dword v2, v[2:3], off
	s_waitcnt vmcnt(0)
	v_alignbit_b32 v1, v2, v1, 30
	v_and_b32_e32 v16, 7, v1
.LBB13_300:
	s_load_dword s6, s[4:5], 0x30
	s_waitcnt lgkmcnt(0)
	s_ashr_i32 s8, s6, 31
	s_lshr_b32 s8, s8, 27
	s_add_i32 s9, s6, s8
	s_and_b32 s8, s9, 0xffffffe0
	s_ashr_i32 s11, s9, 5
	s_sub_i32 s8, s6, s8
	s_mul_i32 s11, s11, 3
	s_cmp_lt_i32 s8, 21
	s_cbranch_scc1 .LBB13_304
; %bb.301:
	s_cmp_eq_u32 s8, 21
	s_cbranch_scc0 .LBB13_305
; %bb.302:
	s_add_i32 s6, s11, 1
	s_mov_b32 s9, 0
	s_branch .LBB13_306
.LBB13_303:
	v_mov_b32_e32 v2, 0
	s_waitcnt vmcnt(0)
	v_lshrrev_b64 v[2:3], s6, v[1:2]
	v_and_b32_e32 v16, 7, v2
	s_cbranch_execz .LBB13_299
	s_branch .LBB13_300
.LBB13_304:
	s_mov_b32 s9, 0
                                        ; implicit-def: $sgpr6
	s_cbranch_execnz .LBB13_307
	s_branch .LBB13_308
.LBB13_305:
	s_mov_b32 s9, -1
                                        ; implicit-def: $sgpr6
.LBB13_306:
	s_branch .LBB13_308
.LBB13_307:
	s_cmp_lg_u32 s8, 10
	s_mov_b32 s6, s11
	s_cselect_b32 s9, -1, 0
.LBB13_308:
	s_andn2_b32 vcc_lo, exec_lo, s9
	s_mov_b32 s9, 1
	s_cbranch_vccnz .LBB13_315
; %bb.309:
	s_cmp_gt_i32 s8, 21
	s_mul_i32 s12, s8, 3
	s_cbranch_scc1 .LBB13_313
; %bb.310:
	s_cmp_lt_i32 s8, 11
	s_mov_b32 s9, s12
	s_mov_b32 s6, s11
	s_cbranch_scc1 .LBB13_312
; %bb.311:
	s_sub_i32 s9, s12, 32
	s_add_i32 s6, s11, 1
.LBB13_312:
	s_cbranch_execz .LBB13_314
	s_branch .LBB13_315
.LBB13_313:
                                        ; implicit-def: $sgpr9
                                        ; implicit-def: $sgpr6
.LBB13_314:
	s_sub_i32 s9, s12, 64
	s_add_i32 s6, s11, 2
.LBB13_315:
	s_waitcnt vmcnt(0)
	v_mad_u64_u32 v[1:2], null, s6, s10, v[0:1]
	v_mov_b32_e32 v2, 0
	s_cmp_lt_i32 s8, 21
	s_mov_b32 s11, 0
	v_lshlrev_b64 v[1:2], 2, v[1:2]
	v_add_co_u32 v1, vcc_lo, s0, v1
	v_add_co_ci_u32_e64 v2, null, s1, v2, vcc_lo
	global_load_dword v1, v[1:2], off
	s_cbranch_scc1 .LBB13_318
; %bb.316:
	s_cmp_eq_u32 s8, 21
	s_cbranch_scc0 .LBB13_319
; %bb.317:
	s_add_i32 s12, s6, 1
	s_waitcnt vmcnt(0)
	v_mad_u64_u32 v[2:3], null, s12, s10, v[0:1]
	v_mov_b32_e32 v3, 0
	s_mov_b32 s12, 0
	v_lshlrev_b64 v[2:3], 2, v[2:3]
	v_add_co_u32 v2, vcc_lo, s0, v2
	v_add_co_ci_u32_e64 v3, null, s1, v3, vcc_lo
	global_load_dword v2, v[2:3], off
	s_waitcnt vmcnt(0)
	v_alignbit_b32 v2, v2, v1, 31
	v_and_b32_e32 v17, 7, v2
	s_branch .LBB13_320
.LBB13_318:
	s_mov_b32 s12, 0
                                        ; implicit-def: $vgpr17
	s_cbranch_execnz .LBB13_321
	s_branch .LBB13_322
.LBB13_319:
	s_mov_b32 s12, -1
                                        ; implicit-def: $vgpr17
.LBB13_320:
	s_branch .LBB13_322
.LBB13_321:
	s_cmp_lg_u32 s8, 10
	s_mov_b32 s11, -1
	s_cselect_b32 s12, -1, 0
.LBB13_322:
	s_andn2_b32 vcc_lo, exec_lo, s12
	s_cbranch_vccz .LBB13_328
; %bb.323:
	s_andn2_b32 vcc_lo, exec_lo, s11
	s_cbranch_vccnz .LBB13_325
.LBB13_324:
	s_add_i32 s6, s6, 1
	s_waitcnt vmcnt(0)
	v_mad_u64_u32 v[2:3], null, s6, s10, v[0:1]
	v_mov_b32_e32 v3, 0
	v_lshlrev_b64 v[2:3], 2, v[2:3]
	v_add_co_u32 v2, vcc_lo, s0, v2
	v_add_co_ci_u32_e64 v3, null, s1, v3, vcc_lo
	global_load_dword v2, v[2:3], off
	s_waitcnt vmcnt(0)
	v_alignbit_b32 v1, v2, v1, 30
	v_and_b32_e32 v17, 7, v1
.LBB13_325:
	s_load_dword s6, s[4:5], 0x34
	s_waitcnt lgkmcnt(0)
	s_ashr_i32 s8, s6, 31
	s_lshr_b32 s8, s8, 27
	s_add_i32 s9, s6, s8
	s_and_b32 s8, s9, 0xffffffe0
	s_ashr_i32 s11, s9, 5
	s_sub_i32 s8, s6, s8
	s_mul_i32 s11, s11, 3
	s_cmp_lt_i32 s8, 21
	s_cbranch_scc1 .LBB13_329
; %bb.326:
	s_cmp_eq_u32 s8, 21
	s_cbranch_scc0 .LBB13_330
; %bb.327:
	s_add_i32 s6, s11, 1
	s_mov_b32 s9, 0
	s_branch .LBB13_331
.LBB13_328:
	v_mov_b32_e32 v2, 0
	s_waitcnt vmcnt(0)
	v_lshrrev_b64 v[2:3], s9, v[1:2]
	v_and_b32_e32 v17, 7, v2
	s_cbranch_execz .LBB13_324
	s_branch .LBB13_325
.LBB13_329:
	s_mov_b32 s9, 0
                                        ; implicit-def: $sgpr6
	s_cbranch_execnz .LBB13_332
	s_branch .LBB13_333
.LBB13_330:
	s_mov_b32 s9, -1
                                        ; implicit-def: $sgpr6
.LBB13_331:
	s_branch .LBB13_333
.LBB13_332:
	s_cmp_lg_u32 s8, 10
	s_mov_b32 s6, s11
	s_cselect_b32 s9, -1, 0
.LBB13_333:
	s_andn2_b32 vcc_lo, exec_lo, s9
	s_mov_b32 s9, 4
	s_cbranch_vccnz .LBB13_340
; %bb.334:
	s_cmp_gt_i32 s8, 21
	s_mul_i32 s12, s8, 3
	s_cbranch_scc1 .LBB13_338
; %bb.335:
	s_cmp_lt_i32 s8, 11
	s_mov_b32 s9, s12
	s_mov_b32 s6, s11
	s_cbranch_scc1 .LBB13_337
; %bb.336:
	s_sub_i32 s9, s12, 32
	s_add_i32 s6, s11, 1
.LBB13_337:
	s_cbranch_execz .LBB13_339
	s_branch .LBB13_340
.LBB13_338:
                                        ; implicit-def: $sgpr9
                                        ; implicit-def: $sgpr6
.LBB13_339:
	s_sub_i32 s9, s12, 64
	s_add_i32 s6, s11, 2
.LBB13_340:
	s_waitcnt vmcnt(0)
	v_mad_u64_u32 v[1:2], null, s6, s10, v[0:1]
	v_mov_b32_e32 v2, 0
	s_cmp_lt_i32 s8, 21
	s_mov_b32 s11, 0
	v_lshlrev_b64 v[1:2], 2, v[1:2]
	v_add_co_u32 v1, vcc_lo, s0, v1
	v_add_co_ci_u32_e64 v2, null, s1, v2, vcc_lo
	global_load_dword v1, v[1:2], off
	s_cbranch_scc1 .LBB13_343
; %bb.341:
	s_cmp_eq_u32 s8, 21
	s_cbranch_scc0 .LBB13_344
; %bb.342:
	s_add_i32 s12, s6, 1
	s_waitcnt vmcnt(0)
	v_mad_u64_u32 v[2:3], null, s12, s10, v[0:1]
	v_mov_b32_e32 v3, 0
	s_mov_b32 s12, 0
	v_lshlrev_b64 v[2:3], 2, v[2:3]
	v_add_co_u32 v2, vcc_lo, s0, v2
	v_add_co_ci_u32_e64 v3, null, s1, v3, vcc_lo
	global_load_dword v2, v[2:3], off
	s_waitcnt vmcnt(0)
	v_alignbit_b32 v2, v2, v1, 31
	v_and_b32_e32 v18, 7, v2
	s_branch .LBB13_345
.LBB13_343:
	s_mov_b32 s12, 0
                                        ; implicit-def: $vgpr18
	s_cbranch_execnz .LBB13_346
	s_branch .LBB13_347
.LBB13_344:
	s_mov_b32 s12, -1
                                        ; implicit-def: $vgpr18
.LBB13_345:
	s_branch .LBB13_347
.LBB13_346:
	s_cmp_lg_u32 s8, 10
	s_mov_b32 s11, -1
	s_cselect_b32 s12, -1, 0
.LBB13_347:
	s_andn2_b32 vcc_lo, exec_lo, s12
	s_cbranch_vccz .LBB13_353
; %bb.348:
	s_andn2_b32 vcc_lo, exec_lo, s11
	s_cbranch_vccnz .LBB13_350
.LBB13_349:
	s_add_i32 s6, s6, 1
	s_waitcnt vmcnt(0)
	v_mad_u64_u32 v[2:3], null, s6, s10, v[0:1]
	v_mov_b32_e32 v3, 0
	v_lshlrev_b64 v[2:3], 2, v[2:3]
	v_add_co_u32 v2, vcc_lo, s0, v2
	v_add_co_ci_u32_e64 v3, null, s1, v3, vcc_lo
	global_load_dword v2, v[2:3], off
	s_waitcnt vmcnt(0)
	v_alignbit_b32 v1, v2, v1, 30
	v_and_b32_e32 v18, 7, v1
.LBB13_350:
	s_load_dword s6, s[4:5], 0x38
	s_waitcnt lgkmcnt(0)
	s_ashr_i32 s8, s6, 31
	s_lshr_b32 s8, s8, 27
	s_add_i32 s9, s6, s8
	s_and_b32 s8, s9, 0xffffffe0
	s_ashr_i32 s11, s9, 5
	s_sub_i32 s8, s6, s8
	s_mul_i32 s11, s11, 3
	s_cmp_lt_i32 s8, 21
	s_cbranch_scc1 .LBB13_354
; %bb.351:
	s_cmp_eq_u32 s8, 21
	s_cbranch_scc0 .LBB13_355
; %bb.352:
	s_add_i32 s6, s11, 1
	s_mov_b32 s9, 0
	s_branch .LBB13_356
.LBB13_353:
	v_mov_b32_e32 v2, 0
	s_waitcnt vmcnt(0)
	v_lshrrev_b64 v[2:3], s9, v[1:2]
	v_and_b32_e32 v18, 7, v2
	s_cbranch_execz .LBB13_349
	s_branch .LBB13_350
.LBB13_354:
	s_mov_b32 s9, 0
                                        ; implicit-def: $sgpr6
	s_cbranch_execnz .LBB13_357
	s_branch .LBB13_358
.LBB13_355:
	s_mov_b32 s9, -1
                                        ; implicit-def: $sgpr6
.LBB13_356:
	s_branch .LBB13_358
.LBB13_357:
	s_cmp_lg_u32 s8, 10
	s_mov_b32 s6, s11
	s_cselect_b32 s9, -1, 0
.LBB13_358:
	s_andn2_b32 vcc_lo, exec_lo, s9
	s_mov_b32 s9, 7
	s_cbranch_vccnz .LBB13_365
; %bb.359:
	s_cmp_gt_i32 s8, 21
	s_mul_i32 s12, s8, 3
	s_cbranch_scc1 .LBB13_363
; %bb.360:
	s_cmp_lt_i32 s8, 11
	s_mov_b32 s9, s12
	s_mov_b32 s6, s11
	s_cbranch_scc1 .LBB13_362
; %bb.361:
	s_sub_i32 s9, s12, 32
	s_add_i32 s6, s11, 1
.LBB13_362:
	s_cbranch_execz .LBB13_364
	s_branch .LBB13_365
.LBB13_363:
                                        ; implicit-def: $sgpr9
                                        ; implicit-def: $sgpr6
.LBB13_364:
	s_sub_i32 s9, s12, 64
	s_add_i32 s6, s11, 2
.LBB13_365:
	s_waitcnt vmcnt(0)
	v_mad_u64_u32 v[1:2], null, s6, s10, v[0:1]
	v_mov_b32_e32 v2, 0
	s_cmp_lt_i32 s8, 21
	s_mov_b32 s11, 0
	v_lshlrev_b64 v[1:2], 2, v[1:2]
	v_add_co_u32 v1, vcc_lo, s0, v1
	v_add_co_ci_u32_e64 v2, null, s1, v2, vcc_lo
	global_load_dword v1, v[1:2], off
	s_cbranch_scc1 .LBB13_368
; %bb.366:
	s_cmp_eq_u32 s8, 21
	s_cbranch_scc0 .LBB13_369
; %bb.367:
	s_add_i32 s12, s6, 1
	s_waitcnt vmcnt(0)
	v_mad_u64_u32 v[2:3], null, s12, s10, v[0:1]
	v_mov_b32_e32 v3, 0
	s_mov_b32 s12, 0
	v_lshlrev_b64 v[2:3], 2, v[2:3]
	v_add_co_u32 v2, vcc_lo, s0, v2
	v_add_co_ci_u32_e64 v3, null, s1, v3, vcc_lo
	global_load_dword v2, v[2:3], off
	s_waitcnt vmcnt(0)
	v_alignbit_b32 v2, v2, v1, 31
	v_and_b32_e32 v19, 7, v2
	s_branch .LBB13_370
.LBB13_368:
	s_mov_b32 s12, 0
                                        ; implicit-def: $vgpr19
	s_cbranch_execnz .LBB13_371
	s_branch .LBB13_372
.LBB13_369:
	s_mov_b32 s12, -1
                                        ; implicit-def: $vgpr19
.LBB13_370:
	s_branch .LBB13_372
.LBB13_371:
	s_cmp_lg_u32 s8, 10
	s_mov_b32 s11, -1
	s_cselect_b32 s12, -1, 0
.LBB13_372:
	s_andn2_b32 vcc_lo, exec_lo, s12
	s_cbranch_vccz .LBB13_378
; %bb.373:
	s_andn2_b32 vcc_lo, exec_lo, s11
	s_cbranch_vccnz .LBB13_375
.LBB13_374:
	s_add_i32 s6, s6, 1
	s_waitcnt vmcnt(0)
	v_mad_u64_u32 v[2:3], null, s6, s10, v[0:1]
	v_mov_b32_e32 v3, 0
	v_lshlrev_b64 v[2:3], 2, v[2:3]
	v_add_co_u32 v2, vcc_lo, s0, v2
	v_add_co_ci_u32_e64 v3, null, s1, v3, vcc_lo
	global_load_dword v2, v[2:3], off
	s_waitcnt vmcnt(0)
	v_alignbit_b32 v1, v2, v1, 30
	v_and_b32_e32 v19, 7, v1
.LBB13_375:
	s_load_dword s6, s[4:5], 0x3c
	s_waitcnt lgkmcnt(0)
	s_ashr_i32 s8, s6, 31
	s_lshr_b32 s8, s8, 27
	s_add_i32 s9, s6, s8
	s_and_b32 s8, s9, 0xffffffe0
	s_ashr_i32 s11, s9, 5
	s_sub_i32 s8, s6, s8
	s_mul_i32 s11, s11, 3
	s_cmp_lt_i32 s8, 21
	s_cbranch_scc1 .LBB13_379
; %bb.376:
	s_cmp_eq_u32 s8, 21
	s_cbranch_scc0 .LBB13_380
; %bb.377:
	s_add_i32 s6, s11, 1
	s_mov_b32 s12, 0
	s_branch .LBB13_381
.LBB13_378:
	v_mov_b32_e32 v2, 0
	s_waitcnt vmcnt(0)
	v_lshrrev_b64 v[2:3], s9, v[1:2]
	v_and_b32_e32 v19, 7, v2
	s_cbranch_execz .LBB13_374
	s_branch .LBB13_375
.LBB13_379:
	s_mov_b32 s12, 0
                                        ; implicit-def: $sgpr6
	s_mov_b32 s9, 10
	s_cbranch_execnz .LBB13_382
	s_branch .LBB13_383
.LBB13_380:
	s_mov_b32 s12, -1
                                        ; implicit-def: $sgpr6
.LBB13_381:
	s_mov_b32 s9, 10
	s_branch .LBB13_383
.LBB13_382:
	s_cmp_lg_u32 s8, 10
	s_mov_b32 s9, s8
	s_cselect_b32 s12, -1, 0
	s_mov_b32 s6, s11
.LBB13_383:
	s_andn2_b32 vcc_lo, exec_lo, s12
	s_cbranch_vccnz .LBB13_390
; %bb.384:
	s_cmp_gt_i32 s8, 21
	s_mul_i32 s12, s8, 3
	s_cbranch_scc1 .LBB13_388
; %bb.385:
	s_cmp_lt_i32 s8, 11
	s_mov_b32 s9, s12
	s_mov_b32 s6, s11
	s_cbranch_scc1 .LBB13_387
; %bb.386:
	s_sub_i32 s9, s12, 32
	s_add_i32 s6, s11, 1
.LBB13_387:
	s_cbranch_execz .LBB13_389
	s_branch .LBB13_390
.LBB13_388:
                                        ; implicit-def: $sgpr9
                                        ; implicit-def: $sgpr6
.LBB13_389:
	s_sub_i32 s9, s12, 64
	s_add_i32 s6, s11, 2
.LBB13_390:
	s_waitcnt vmcnt(0)
	v_mad_u64_u32 v[1:2], null, s6, s10, v[0:1]
	v_mov_b32_e32 v2, 0
	s_cmp_lt_i32 s8, 21
	s_mov_b32 s11, 0
	v_lshlrev_b64 v[1:2], 2, v[1:2]
	v_add_co_u32 v1, vcc_lo, s0, v1
	v_add_co_ci_u32_e64 v2, null, s1, v2, vcc_lo
	global_load_dword v1, v[1:2], off
	s_cbranch_scc1 .LBB13_393
; %bb.391:
	s_cmp_eq_u32 s8, 21
	s_cbranch_scc0 .LBB13_394
; %bb.392:
	s_add_i32 s12, s6, 1
	s_waitcnt vmcnt(0)
	v_mad_u64_u32 v[2:3], null, s12, s10, v[0:1]
	v_mov_b32_e32 v3, 0
	s_mov_b32 s12, 0
	v_lshlrev_b64 v[2:3], 2, v[2:3]
	v_add_co_u32 v2, vcc_lo, s0, v2
	v_add_co_ci_u32_e64 v3, null, s1, v3, vcc_lo
	global_load_dword v2, v[2:3], off
	s_waitcnt vmcnt(0)
	v_alignbit_b32 v2, v2, v1, 31
	v_and_b32_e32 v20, 7, v2
	s_branch .LBB13_395
.LBB13_393:
	s_mov_b32 s12, 0
                                        ; implicit-def: $vgpr20
	s_cbranch_execnz .LBB13_396
	s_branch .LBB13_397
.LBB13_394:
	s_mov_b32 s12, -1
                                        ; implicit-def: $vgpr20
.LBB13_395:
	s_branch .LBB13_397
.LBB13_396:
	s_cmp_lg_u32 s8, 10
	s_mov_b32 s11, -1
	s_cselect_b32 s12, -1, 0
.LBB13_397:
	s_andn2_b32 vcc_lo, exec_lo, s12
	s_cbranch_vccz .LBB13_403
; %bb.398:
	s_andn2_b32 vcc_lo, exec_lo, s11
	s_cbranch_vccnz .LBB13_400
.LBB13_399:
	s_add_i32 s6, s6, 1
	s_waitcnt vmcnt(0)
	v_mad_u64_u32 v[2:3], null, s6, s10, v[0:1]
	v_mov_b32_e32 v3, 0
	v_lshlrev_b64 v[2:3], 2, v[2:3]
	v_add_co_u32 v2, vcc_lo, s0, v2
	v_add_co_ci_u32_e64 v3, null, s1, v3, vcc_lo
	global_load_dword v2, v[2:3], off
	s_waitcnt vmcnt(0)
	v_alignbit_b32 v1, v2, v1, 30
	v_and_b32_e32 v20, 7, v1
.LBB13_400:
	s_load_dword s6, s[4:5], 0x40
	s_waitcnt lgkmcnt(0)
	s_ashr_i32 s8, s6, 31
	s_lshr_b32 s8, s8, 27
	s_add_i32 s9, s6, s8
	s_and_b32 s8, s9, 0xffffffe0
	s_ashr_i32 s11, s9, 5
	s_sub_i32 s8, s6, s8
	s_mul_i32 s11, s11, 3
	s_cmp_lt_i32 s8, 21
	s_cbranch_scc1 .LBB13_404
; %bb.401:
	s_cmp_eq_u32 s8, 21
	s_cbranch_scc0 .LBB13_405
; %bb.402:
	s_add_i32 s6, s11, 1
	s_mov_b32 s9, 0
	s_branch .LBB13_406
.LBB13_403:
	v_mov_b32_e32 v2, 0
	s_waitcnt vmcnt(0)
	v_lshrrev_b64 v[2:3], s9, v[1:2]
	v_and_b32_e32 v20, 7, v2
	s_cbranch_execz .LBB13_399
	s_branch .LBB13_400
.LBB13_404:
	s_mov_b32 s9, 0
                                        ; implicit-def: $sgpr6
	s_cbranch_execnz .LBB13_407
	s_branch .LBB13_408
.LBB13_405:
	s_mov_b32 s9, -1
                                        ; implicit-def: $sgpr6
.LBB13_406:
	s_branch .LBB13_408
.LBB13_407:
	s_cmp_lg_u32 s8, 10
	s_mov_b32 s6, s11
	s_cselect_b32 s9, -1, 0
.LBB13_408:
	s_andn2_b32 vcc_lo, exec_lo, s9
	s_mov_b32 s9, 13
	s_cbranch_vccnz .LBB13_415
; %bb.409:
	s_cmp_gt_i32 s8, 21
	s_mul_i32 s12, s8, 3
	s_cbranch_scc1 .LBB13_413
; %bb.410:
	s_cmp_lt_i32 s8, 11
	s_mov_b32 s9, s12
	s_mov_b32 s6, s11
	s_cbranch_scc1 .LBB13_412
; %bb.411:
	s_sub_i32 s9, s12, 32
	s_add_i32 s6, s11, 1
.LBB13_412:
	s_cbranch_execz .LBB13_414
	s_branch .LBB13_415
.LBB13_413:
                                        ; implicit-def: $sgpr9
                                        ; implicit-def: $sgpr6
.LBB13_414:
	s_sub_i32 s9, s12, 64
	s_add_i32 s6, s11, 2
.LBB13_415:
	s_waitcnt vmcnt(0)
	v_mad_u64_u32 v[1:2], null, s6, s10, v[0:1]
	v_mov_b32_e32 v2, 0
	s_cmp_lt_i32 s8, 21
	s_mov_b32 s11, 0
	v_lshlrev_b64 v[1:2], 2, v[1:2]
	v_add_co_u32 v1, vcc_lo, s0, v1
	v_add_co_ci_u32_e64 v2, null, s1, v2, vcc_lo
	global_load_dword v1, v[1:2], off
	s_cbranch_scc1 .LBB13_418
; %bb.416:
	s_cmp_eq_u32 s8, 21
	s_cbranch_scc0 .LBB13_419
; %bb.417:
	s_add_i32 s12, s6, 1
	s_waitcnt vmcnt(0)
	v_mad_u64_u32 v[2:3], null, s12, s10, v[0:1]
	v_mov_b32_e32 v3, 0
	s_mov_b32 s12, 0
	v_lshlrev_b64 v[2:3], 2, v[2:3]
	v_add_co_u32 v2, vcc_lo, s0, v2
	v_add_co_ci_u32_e64 v3, null, s1, v3, vcc_lo
	global_load_dword v2, v[2:3], off
	s_waitcnt vmcnt(0)
	v_alignbit_b32 v2, v2, v1, 31
	v_and_b32_e32 v21, 7, v2
	s_branch .LBB13_420
.LBB13_418:
	s_mov_b32 s12, 0
                                        ; implicit-def: $vgpr21
	s_cbranch_execnz .LBB13_421
	s_branch .LBB13_422
.LBB13_419:
	s_mov_b32 s12, -1
                                        ; implicit-def: $vgpr21
.LBB13_420:
	s_branch .LBB13_422
.LBB13_421:
	s_cmp_lg_u32 s8, 10
	s_mov_b32 s11, -1
	s_cselect_b32 s12, -1, 0
.LBB13_422:
	s_andn2_b32 vcc_lo, exec_lo, s12
	s_cbranch_vccz .LBB13_428
; %bb.423:
	s_andn2_b32 vcc_lo, exec_lo, s11
	s_cbranch_vccnz .LBB13_425
.LBB13_424:
	s_add_i32 s6, s6, 1
	s_waitcnt vmcnt(0)
	v_mad_u64_u32 v[2:3], null, s6, s10, v[0:1]
	v_mov_b32_e32 v3, 0
	v_lshlrev_b64 v[2:3], 2, v[2:3]
	v_add_co_u32 v2, vcc_lo, s0, v2
	v_add_co_ci_u32_e64 v3, null, s1, v3, vcc_lo
	global_load_dword v2, v[2:3], off
	s_waitcnt vmcnt(0)
	v_alignbit_b32 v1, v2, v1, 30
	v_and_b32_e32 v21, 7, v1
.LBB13_425:
	s_load_dword s6, s[4:5], 0x44
	s_waitcnt lgkmcnt(0)
	s_ashr_i32 s8, s6, 31
	s_lshr_b32 s8, s8, 27
	s_add_i32 s9, s6, s8
	s_and_b32 s8, s9, 0xffffffe0
	s_ashr_i32 s11, s9, 5
	s_sub_i32 s8, s6, s8
	s_mul_i32 s11, s11, 3
	s_cmp_lt_i32 s8, 21
	s_cbranch_scc1 .LBB13_429
; %bb.426:
	s_cmp_eq_u32 s8, 21
	s_cbranch_scc0 .LBB13_430
; %bb.427:
	s_add_i32 s6, s11, 1
	s_mov_b32 s9, 0
	s_branch .LBB13_431
.LBB13_428:
	v_mov_b32_e32 v2, 0
	s_waitcnt vmcnt(0)
	v_lshrrev_b64 v[2:3], s9, v[1:2]
	v_and_b32_e32 v21, 7, v2
	s_cbranch_execz .LBB13_424
	s_branch .LBB13_425
.LBB13_429:
	s_mov_b32 s9, 0
                                        ; implicit-def: $sgpr6
	s_cbranch_execnz .LBB13_432
	s_branch .LBB13_433
.LBB13_430:
	s_mov_b32 s9, -1
                                        ; implicit-def: $sgpr6
.LBB13_431:
	s_branch .LBB13_433
.LBB13_432:
	s_cmp_lg_u32 s8, 10
	s_mov_b32 s6, s11
	s_cselect_b32 s9, -1, 0
.LBB13_433:
	s_andn2_b32 vcc_lo, exec_lo, s9
	s_mov_b32 s9, 16
	s_cbranch_vccnz .LBB13_440
; %bb.434:
	s_cmp_gt_i32 s8, 21
	s_mul_i32 s12, s8, 3
	s_cbranch_scc1 .LBB13_438
; %bb.435:
	s_cmp_lt_i32 s8, 11
	s_mov_b32 s9, s12
	s_mov_b32 s6, s11
	s_cbranch_scc1 .LBB13_437
; %bb.436:
	s_sub_i32 s9, s12, 32
	s_add_i32 s6, s11, 1
.LBB13_437:
	s_cbranch_execz .LBB13_439
	s_branch .LBB13_440
.LBB13_438:
                                        ; implicit-def: $sgpr9
                                        ; implicit-def: $sgpr6
.LBB13_439:
	s_sub_i32 s9, s12, 64
	s_add_i32 s6, s11, 2
.LBB13_440:
	s_waitcnt vmcnt(0)
	v_mad_u64_u32 v[1:2], null, s6, s10, v[0:1]
	v_mov_b32_e32 v2, 0
	s_cmp_lt_i32 s8, 21
	s_mov_b32 s11, 0
	v_lshlrev_b64 v[1:2], 2, v[1:2]
	v_add_co_u32 v1, vcc_lo, s0, v1
	v_add_co_ci_u32_e64 v2, null, s1, v2, vcc_lo
	global_load_dword v1, v[1:2], off
	s_cbranch_scc1 .LBB13_443
; %bb.441:
	s_cmp_eq_u32 s8, 21
	s_cbranch_scc0 .LBB13_444
; %bb.442:
	s_add_i32 s12, s6, 1
	s_waitcnt vmcnt(0)
	v_mad_u64_u32 v[2:3], null, s12, s10, v[0:1]
	v_mov_b32_e32 v3, 0
	s_mov_b32 s12, 0
	v_lshlrev_b64 v[2:3], 2, v[2:3]
	v_add_co_u32 v2, vcc_lo, s0, v2
	v_add_co_ci_u32_e64 v3, null, s1, v3, vcc_lo
	global_load_dword v2, v[2:3], off
	s_waitcnt vmcnt(0)
	v_alignbit_b32 v2, v2, v1, 31
	v_and_b32_e32 v22, 7, v2
	s_branch .LBB13_445
.LBB13_443:
	s_mov_b32 s12, 0
                                        ; implicit-def: $vgpr22
	s_cbranch_execnz .LBB13_446
	s_branch .LBB13_447
.LBB13_444:
	s_mov_b32 s12, -1
                                        ; implicit-def: $vgpr22
.LBB13_445:
	s_branch .LBB13_447
.LBB13_446:
	s_cmp_lg_u32 s8, 10
	s_mov_b32 s11, -1
	s_cselect_b32 s12, -1, 0
.LBB13_447:
	s_andn2_b32 vcc_lo, exec_lo, s12
	s_cbranch_vccz .LBB13_453
; %bb.448:
	s_andn2_b32 vcc_lo, exec_lo, s11
	s_cbranch_vccnz .LBB13_450
.LBB13_449:
	s_add_i32 s6, s6, 1
	s_waitcnt vmcnt(0)
	v_mad_u64_u32 v[2:3], null, s6, s10, v[0:1]
	v_mov_b32_e32 v3, 0
	v_lshlrev_b64 v[2:3], 2, v[2:3]
	v_add_co_u32 v2, vcc_lo, s0, v2
	v_add_co_ci_u32_e64 v3, null, s1, v3, vcc_lo
	global_load_dword v2, v[2:3], off
	s_waitcnt vmcnt(0)
	v_alignbit_b32 v1, v2, v1, 30
	v_and_b32_e32 v22, 7, v1
.LBB13_450:
	s_load_dword s6, s[4:5], 0x48
	s_waitcnt lgkmcnt(0)
	s_ashr_i32 s8, s6, 31
	s_lshr_b32 s8, s8, 27
	s_add_i32 s9, s6, s8
	s_and_b32 s8, s9, 0xffffffe0
	s_ashr_i32 s11, s9, 5
	s_sub_i32 s8, s6, s8
	s_mul_i32 s11, s11, 3
	s_cmp_lt_i32 s8, 21
	s_cbranch_scc1 .LBB13_454
; %bb.451:
	s_cmp_eq_u32 s8, 21
	s_cbranch_scc0 .LBB13_455
; %bb.452:
	s_add_i32 s6, s11, 1
	s_mov_b32 s9, 0
	s_branch .LBB13_456
.LBB13_453:
	v_mov_b32_e32 v2, 0
	s_waitcnt vmcnt(0)
	v_lshrrev_b64 v[2:3], s9, v[1:2]
	v_and_b32_e32 v22, 7, v2
	s_cbranch_execz .LBB13_449
	s_branch .LBB13_450
.LBB13_454:
	s_mov_b32 s9, 0
                                        ; implicit-def: $sgpr6
	s_cbranch_execnz .LBB13_457
	s_branch .LBB13_458
.LBB13_455:
	s_mov_b32 s9, -1
                                        ; implicit-def: $sgpr6
.LBB13_456:
	s_branch .LBB13_458
.LBB13_457:
	s_cmp_lg_u32 s8, 10
	s_mov_b32 s6, s11
	s_cselect_b32 s9, -1, 0
.LBB13_458:
	s_andn2_b32 vcc_lo, exec_lo, s9
	s_mov_b32 s9, 19
	s_cbranch_vccnz .LBB13_465
; %bb.459:
	s_cmp_gt_i32 s8, 21
	s_mul_i32 s12, s8, 3
	s_cbranch_scc1 .LBB13_463
; %bb.460:
	s_cmp_lt_i32 s8, 11
	s_mov_b32 s9, s12
	s_mov_b32 s6, s11
	s_cbranch_scc1 .LBB13_462
; %bb.461:
	s_sub_i32 s9, s12, 32
	s_add_i32 s6, s11, 1
.LBB13_462:
	s_cbranch_execz .LBB13_464
	s_branch .LBB13_465
.LBB13_463:
                                        ; implicit-def: $sgpr9
                                        ; implicit-def: $sgpr6
.LBB13_464:
	s_sub_i32 s9, s12, 64
	s_add_i32 s6, s11, 2
.LBB13_465:
	s_waitcnt vmcnt(0)
	v_mad_u64_u32 v[1:2], null, s6, s10, v[0:1]
	v_mov_b32_e32 v2, 0
	s_cmp_lt_i32 s8, 21
	s_mov_b32 s11, 0
	v_lshlrev_b64 v[1:2], 2, v[1:2]
	v_add_co_u32 v1, vcc_lo, s0, v1
	v_add_co_ci_u32_e64 v2, null, s1, v2, vcc_lo
	global_load_dword v1, v[1:2], off
	s_cbranch_scc1 .LBB13_468
; %bb.466:
	s_cmp_eq_u32 s8, 21
	s_cbranch_scc0 .LBB13_469
; %bb.467:
	s_add_i32 s12, s6, 1
	s_waitcnt vmcnt(0)
	v_mad_u64_u32 v[2:3], null, s12, s10, v[0:1]
	v_mov_b32_e32 v3, 0
	s_mov_b32 s12, 0
	v_lshlrev_b64 v[2:3], 2, v[2:3]
	v_add_co_u32 v2, vcc_lo, s0, v2
	v_add_co_ci_u32_e64 v3, null, s1, v3, vcc_lo
	global_load_dword v2, v[2:3], off
	s_waitcnt vmcnt(0)
	v_alignbit_b32 v2, v2, v1, 31
	v_and_b32_e32 v23, 7, v2
	s_branch .LBB13_470
.LBB13_468:
	s_mov_b32 s12, 0
                                        ; implicit-def: $vgpr23
	s_cbranch_execnz .LBB13_471
	s_branch .LBB13_472
.LBB13_469:
	s_mov_b32 s12, -1
                                        ; implicit-def: $vgpr23
.LBB13_470:
	s_branch .LBB13_472
.LBB13_471:
	s_cmp_lg_u32 s8, 10
	s_mov_b32 s11, -1
	s_cselect_b32 s12, -1, 0
.LBB13_472:
	s_andn2_b32 vcc_lo, exec_lo, s12
	s_cbranch_vccz .LBB13_478
; %bb.473:
	s_andn2_b32 vcc_lo, exec_lo, s11
	s_cbranch_vccnz .LBB13_475
.LBB13_474:
	s_add_i32 s6, s6, 1
	s_waitcnt vmcnt(0)
	v_mad_u64_u32 v[2:3], null, s6, s10, v[0:1]
	v_mov_b32_e32 v3, 0
	v_lshlrev_b64 v[2:3], 2, v[2:3]
	v_add_co_u32 v2, vcc_lo, s0, v2
	v_add_co_ci_u32_e64 v3, null, s1, v3, vcc_lo
	global_load_dword v2, v[2:3], off
	s_waitcnt vmcnt(0)
	v_alignbit_b32 v1, v2, v1, 30
	v_and_b32_e32 v23, 7, v1
.LBB13_475:
	s_load_dword s6, s[4:5], 0x4c
	s_waitcnt lgkmcnt(0)
	s_ashr_i32 s8, s6, 31
	s_lshr_b32 s8, s8, 27
	s_add_i32 s9, s6, s8
	s_and_b32 s8, s9, 0xffffffe0
	s_ashr_i32 s11, s9, 5
	s_sub_i32 s8, s6, s8
	s_mul_i32 s11, s11, 3
	s_cmp_lt_i32 s8, 21
	s_cbranch_scc1 .LBB13_479
; %bb.476:
	s_cmp_eq_u32 s8, 21
	s_cbranch_scc0 .LBB13_480
; %bb.477:
	s_add_i32 s6, s11, 1
	s_mov_b32 s9, 0
	s_branch .LBB13_481
.LBB13_478:
	v_mov_b32_e32 v2, 0
	s_waitcnt vmcnt(0)
	v_lshrrev_b64 v[2:3], s9, v[1:2]
	v_and_b32_e32 v23, 7, v2
	s_cbranch_execz .LBB13_474
	s_branch .LBB13_475
.LBB13_479:
	s_mov_b32 s9, 0
                                        ; implicit-def: $sgpr6
	s_cbranch_execnz .LBB13_482
	s_branch .LBB13_483
.LBB13_480:
	s_mov_b32 s9, -1
                                        ; implicit-def: $sgpr6
.LBB13_481:
	s_branch .LBB13_483
.LBB13_482:
	s_cmp_lg_u32 s8, 10
	s_mov_b32 s6, s11
	s_cselect_b32 s9, -1, 0
.LBB13_483:
	s_andn2_b32 vcc_lo, exec_lo, s9
	s_mov_b32 s9, 22
	s_cbranch_vccnz .LBB13_490
; %bb.484:
	s_cmp_gt_i32 s8, 21
	s_mul_i32 s12, s8, 3
	s_cbranch_scc1 .LBB13_488
; %bb.485:
	s_cmp_lt_i32 s8, 11
	s_mov_b32 s9, s12
	s_mov_b32 s6, s11
	s_cbranch_scc1 .LBB13_487
; %bb.486:
	s_sub_i32 s9, s12, 32
	s_add_i32 s6, s11, 1
.LBB13_487:
	s_cbranch_execz .LBB13_489
	s_branch .LBB13_490
.LBB13_488:
                                        ; implicit-def: $sgpr9
                                        ; implicit-def: $sgpr6
.LBB13_489:
	s_sub_i32 s9, s12, 64
	s_add_i32 s6, s11, 2
.LBB13_490:
	s_waitcnt vmcnt(0)
	v_mad_u64_u32 v[1:2], null, s6, s10, v[0:1]
	v_mov_b32_e32 v2, 0
	s_cmp_lt_i32 s8, 21
	s_mov_b32 s11, 0
	v_lshlrev_b64 v[1:2], 2, v[1:2]
	v_add_co_u32 v1, vcc_lo, s0, v1
	v_add_co_ci_u32_e64 v2, null, s1, v2, vcc_lo
	global_load_dword v1, v[1:2], off
	s_cbranch_scc1 .LBB13_493
; %bb.491:
	s_cmp_eq_u32 s8, 21
	s_cbranch_scc0 .LBB13_494
; %bb.492:
	s_add_i32 s12, s6, 1
	s_waitcnt vmcnt(0)
	v_mad_u64_u32 v[2:3], null, s12, s10, v[0:1]
	v_mov_b32_e32 v3, 0
	s_mov_b32 s12, 0
	v_lshlrev_b64 v[2:3], 2, v[2:3]
	v_add_co_u32 v2, vcc_lo, s0, v2
	v_add_co_ci_u32_e64 v3, null, s1, v3, vcc_lo
	global_load_dword v2, v[2:3], off
	s_waitcnt vmcnt(0)
	v_alignbit_b32 v2, v2, v1, 31
	v_and_b32_e32 v24, 7, v2
	s_branch .LBB13_495
.LBB13_493:
	s_mov_b32 s12, 0
                                        ; implicit-def: $vgpr24
	s_cbranch_execnz .LBB13_496
	s_branch .LBB13_497
.LBB13_494:
	s_mov_b32 s12, -1
                                        ; implicit-def: $vgpr24
.LBB13_495:
	s_branch .LBB13_497
.LBB13_496:
	s_cmp_lg_u32 s8, 10
	s_mov_b32 s11, -1
	s_cselect_b32 s12, -1, 0
.LBB13_497:
	s_andn2_b32 vcc_lo, exec_lo, s12
	s_cbranch_vccz .LBB13_503
; %bb.498:
	s_andn2_b32 vcc_lo, exec_lo, s11
	s_cbranch_vccnz .LBB13_500
.LBB13_499:
	s_add_i32 s6, s6, 1
	s_waitcnt vmcnt(0)
	v_mad_u64_u32 v[2:3], null, s6, s10, v[0:1]
	v_mov_b32_e32 v3, 0
	v_lshlrev_b64 v[2:3], 2, v[2:3]
	v_add_co_u32 v2, vcc_lo, s0, v2
	v_add_co_ci_u32_e64 v3, null, s1, v3, vcc_lo
	global_load_dword v2, v[2:3], off
	s_waitcnt vmcnt(0)
	v_alignbit_b32 v1, v2, v1, 30
	v_and_b32_e32 v24, 7, v1
.LBB13_500:
	s_load_dword s6, s[4:5], 0x50
	s_waitcnt lgkmcnt(0)
	s_ashr_i32 s8, s6, 31
	s_lshr_b32 s8, s8, 27
	s_add_i32 s9, s6, s8
	s_and_b32 s8, s9, 0xffffffe0
	s_ashr_i32 s11, s9, 5
	s_sub_i32 s8, s6, s8
	s_mul_i32 s11, s11, 3
	s_cmp_lt_i32 s8, 21
	s_cbranch_scc1 .LBB13_504
; %bb.501:
	s_cmp_eq_u32 s8, 21
	s_cbranch_scc0 .LBB13_505
; %bb.502:
	s_add_i32 s6, s11, 1
	s_mov_b32 s9, 0
	s_branch .LBB13_506
.LBB13_503:
	v_mov_b32_e32 v2, 0
	s_waitcnt vmcnt(0)
	v_lshrrev_b64 v[2:3], s9, v[1:2]
	v_and_b32_e32 v24, 7, v2
	s_cbranch_execz .LBB13_499
	s_branch .LBB13_500
.LBB13_504:
	s_mov_b32 s9, 0
                                        ; implicit-def: $sgpr6
	s_cbranch_execnz .LBB13_507
	s_branch .LBB13_508
.LBB13_505:
	s_mov_b32 s9, -1
                                        ; implicit-def: $sgpr6
.LBB13_506:
	s_branch .LBB13_508
.LBB13_507:
	s_cmp_lg_u32 s8, 10
	s_mov_b32 s6, s11
	s_cselect_b32 s9, -1, 0
.LBB13_508:
	s_andn2_b32 vcc_lo, exec_lo, s9
	s_mov_b32 s9, 25
	s_cbranch_vccnz .LBB13_515
; %bb.509:
	s_cmp_gt_i32 s8, 21
	s_mul_i32 s12, s8, 3
	s_cbranch_scc1 .LBB13_513
; %bb.510:
	s_cmp_lt_i32 s8, 11
	s_mov_b32 s9, s12
	s_mov_b32 s6, s11
	s_cbranch_scc1 .LBB13_512
; %bb.511:
	s_sub_i32 s9, s12, 32
	s_add_i32 s6, s11, 1
.LBB13_512:
	s_cbranch_execz .LBB13_514
	s_branch .LBB13_515
.LBB13_513:
                                        ; implicit-def: $sgpr9
                                        ; implicit-def: $sgpr6
.LBB13_514:
	s_sub_i32 s9, s12, 64
	s_add_i32 s6, s11, 2
.LBB13_515:
	s_waitcnt vmcnt(0)
	v_mad_u64_u32 v[1:2], null, s6, s10, v[0:1]
	v_mov_b32_e32 v2, 0
	s_cmp_lt_i32 s8, 21
	s_mov_b32 s11, 0
	v_lshlrev_b64 v[1:2], 2, v[1:2]
	v_add_co_u32 v1, vcc_lo, s0, v1
	v_add_co_ci_u32_e64 v2, null, s1, v2, vcc_lo
	global_load_dword v1, v[1:2], off
	s_cbranch_scc1 .LBB13_518
; %bb.516:
	s_cmp_eq_u32 s8, 21
	s_cbranch_scc0 .LBB13_519
; %bb.517:
	s_add_i32 s12, s6, 1
	s_waitcnt vmcnt(0)
	v_mad_u64_u32 v[2:3], null, s12, s10, v[0:1]
	v_mov_b32_e32 v3, 0
	s_mov_b32 s12, 0
	v_lshlrev_b64 v[2:3], 2, v[2:3]
	v_add_co_u32 v2, vcc_lo, s0, v2
	v_add_co_ci_u32_e64 v3, null, s1, v3, vcc_lo
	global_load_dword v2, v[2:3], off
	s_waitcnt vmcnt(0)
	v_alignbit_b32 v2, v2, v1, 31
	v_and_b32_e32 v25, 7, v2
	s_branch .LBB13_520
.LBB13_518:
	s_mov_b32 s12, 0
                                        ; implicit-def: $vgpr25
	s_cbranch_execnz .LBB13_521
	s_branch .LBB13_522
.LBB13_519:
	s_mov_b32 s12, -1
                                        ; implicit-def: $vgpr25
.LBB13_520:
	s_branch .LBB13_522
.LBB13_521:
	s_cmp_lg_u32 s8, 10
	s_mov_b32 s11, -1
	s_cselect_b32 s12, -1, 0
.LBB13_522:
	s_andn2_b32 vcc_lo, exec_lo, s12
	s_cbranch_vccz .LBB13_528
; %bb.523:
	s_andn2_b32 vcc_lo, exec_lo, s11
	s_cbranch_vccnz .LBB13_525
.LBB13_524:
	s_add_i32 s6, s6, 1
	s_waitcnt vmcnt(0)
	v_mad_u64_u32 v[2:3], null, s6, s10, v[0:1]
	v_mov_b32_e32 v3, 0
	v_lshlrev_b64 v[2:3], 2, v[2:3]
	v_add_co_u32 v2, vcc_lo, s0, v2
	v_add_co_ci_u32_e64 v3, null, s1, v3, vcc_lo
	global_load_dword v2, v[2:3], off
	s_waitcnt vmcnt(0)
	v_alignbit_b32 v1, v2, v1, 30
	v_and_b32_e32 v25, 7, v1
.LBB13_525:
	s_load_dword s6, s[4:5], 0x54
	s_waitcnt lgkmcnt(0)
	s_ashr_i32 s8, s6, 31
	s_lshr_b32 s8, s8, 27
	s_add_i32 s8, s6, s8
	s_and_b32 s9, s8, 0xffffffe0
	s_ashr_i32 s11, s8, 5
	s_sub_i32 s9, s6, s9
	s_mul_i32 s11, s11, 3
	s_cmp_lt_i32 s9, 21
	s_cbranch_scc1 .LBB13_529
; %bb.526:
	s_cmp_eq_u32 s9, 21
	s_cbranch_scc0 .LBB13_530
; %bb.527:
	s_add_i32 s8, s11, 1
	s_mov_b32 s6, 0
	s_branch .LBB13_531
.LBB13_528:
	v_mov_b32_e32 v2, 0
	s_waitcnt vmcnt(0)
	v_lshrrev_b64 v[2:3], s9, v[1:2]
	v_and_b32_e32 v25, 7, v2
	s_cbranch_execz .LBB13_524
	s_branch .LBB13_525
.LBB13_529:
	s_mov_b32 s6, 0
                                        ; implicit-def: $sgpr8
	s_cbranch_execnz .LBB13_532
	s_branch .LBB13_533
.LBB13_530:
	s_mov_b32 s6, -1
                                        ; implicit-def: $sgpr8
.LBB13_531:
	s_branch .LBB13_533
.LBB13_532:
	s_cmp_lg_u32 s9, 10
	s_mov_b32 s8, s11
	s_cselect_b32 s6, -1, 0
.LBB13_533:
	s_andn2_b32 vcc_lo, exec_lo, s6
	s_mov_b32 s6, 28
	s_cbranch_vccnz .LBB13_540
; %bb.534:
	s_cmp_gt_i32 s9, 21
	s_mul_i32 s12, s9, 3
	s_cbranch_scc1 .LBB13_538
; %bb.535:
	s_cmp_lt_i32 s9, 11
	s_mov_b32 s6, s12
	s_mov_b32 s8, s11
	s_cbranch_scc1 .LBB13_537
; %bb.536:
	s_sub_i32 s6, s12, 32
	s_add_i32 s8, s11, 1
.LBB13_537:
	s_cbranch_execz .LBB13_539
	s_branch .LBB13_540
.LBB13_538:
                                        ; implicit-def: $sgpr6
                                        ; implicit-def: $sgpr8
.LBB13_539:
	s_sub_i32 s6, s12, 64
	s_add_i32 s8, s11, 2
.LBB13_540:
	s_waitcnt vmcnt(0)
	v_mad_u64_u32 v[1:2], null, s8, s10, v[0:1]
	v_mov_b32_e32 v2, 0
	s_cmp_lt_i32 s9, 21
	s_mov_b32 s11, 0
	v_lshlrev_b64 v[1:2], 2, v[1:2]
	v_add_co_u32 v1, vcc_lo, s0, v1
	v_add_co_ci_u32_e64 v2, null, s1, v2, vcc_lo
	global_load_dword v1, v[1:2], off
	s_cbranch_scc1 .LBB13_543
; %bb.541:
	s_cmp_eq_u32 s9, 21
	s_cbranch_scc0 .LBB13_544
; %bb.542:
	s_add_i32 s12, s8, 1
	s_waitcnt vmcnt(0)
	v_mad_u64_u32 v[2:3], null, s12, s10, v[0:1]
	v_mov_b32_e32 v3, 0
	s_mov_b32 s12, 0
	v_lshlrev_b64 v[2:3], 2, v[2:3]
	v_add_co_u32 v2, vcc_lo, s0, v2
	v_add_co_ci_u32_e64 v3, null, s1, v3, vcc_lo
	global_load_dword v2, v[2:3], off
	s_waitcnt vmcnt(0)
	v_alignbit_b32 v2, v2, v1, 31
	v_and_b32_e32 v26, 7, v2
	s_branch .LBB13_545
.LBB13_543:
	s_mov_b32 s12, 0
                                        ; implicit-def: $vgpr26
	s_cbranch_execnz .LBB13_546
	s_branch .LBB13_547
.LBB13_544:
	s_mov_b32 s12, -1
                                        ; implicit-def: $vgpr26
.LBB13_545:
	s_branch .LBB13_547
.LBB13_546:
	s_cmp_lg_u32 s9, 10
	s_mov_b32 s11, -1
	s_cselect_b32 s12, -1, 0
.LBB13_547:
	s_andn2_b32 vcc_lo, exec_lo, s12
	s_cbranch_vccz .LBB13_553
; %bb.548:
	s_andn2_b32 vcc_lo, exec_lo, s11
	s_cbranch_vccnz .LBB13_550
.LBB13_549:
	s_add_i32 s8, s8, 1
	s_waitcnt vmcnt(0)
	v_mad_u64_u32 v[2:3], null, s8, s10, v[0:1]
	v_mov_b32_e32 v3, 0
	v_lshlrev_b64 v[2:3], 2, v[2:3]
	v_add_co_u32 v2, vcc_lo, s0, v2
	v_add_co_ci_u32_e64 v3, null, s1, v3, vcc_lo
	global_load_dword v2, v[2:3], off
	s_waitcnt vmcnt(0)
	v_alignbit_b32 v1, v2, v1, 30
	v_and_b32_e32 v26, 7, v1
.LBB13_550:
	s_load_dword s8, s[4:5], 0x58
	s_waitcnt lgkmcnt(0)
	s_ashr_i32 s9, s8, 31
	s_lshr_b32 s9, s9, 27
	s_add_i32 s11, s8, s9
	s_and_b32 s9, s11, 0xffffffe0
	s_ashr_i32 s11, s11, 5
	s_sub_i32 s9, s8, s9
	s_mul_i32 s11, s11, 3
	s_cmp_lt_i32 s9, 21
	s_cbranch_scc1 .LBB13_554
; %bb.551:
	s_cmp_eq_u32 s9, 21
	s_cbranch_scc0 .LBB13_555
; %bb.552:
	s_add_i32 s8, s11, 1
	s_mov_b32 s12, 0
	s_branch .LBB13_556
.LBB13_553:
	v_mov_b32_e32 v2, 0
	s_waitcnt vmcnt(0)
	v_lshrrev_b64 v[2:3], s6, v[1:2]
	v_and_b32_e32 v26, 7, v2
	s_cbranch_execz .LBB13_549
	s_branch .LBB13_550
.LBB13_554:
	s_mov_b32 s12, 0
                                        ; implicit-def: $sgpr8
	s_cbranch_execnz .LBB13_557
	s_branch .LBB13_558
.LBB13_555:
	s_mov_b32 s12, -1
                                        ; implicit-def: $sgpr8
.LBB13_556:
	s_branch .LBB13_558
.LBB13_557:
	s_cmp_lg_u32 s9, 10
	s_mov_b32 s8, s11
	s_cselect_b32 s12, -1, 0
.LBB13_558:
	s_andn2_b32 vcc_lo, exec_lo, s12
	s_cbranch_vccnz .LBB13_565
; %bb.559:
	s_cmp_gt_i32 s9, 21
	s_mul_i32 s12, s9, 3
	s_cbranch_scc1 .LBB13_563
; %bb.560:
	s_cmp_lt_i32 s9, 11
	s_mov_b32 s6, s12
	s_mov_b32 s8, s11
	s_cbranch_scc1 .LBB13_562
; %bb.561:
	s_sub_i32 s6, s12, 32
	s_add_i32 s8, s11, 1
.LBB13_562:
	s_cbranch_execz .LBB13_564
	s_branch .LBB13_565
.LBB13_563:
                                        ; implicit-def: $sgpr6
                                        ; implicit-def: $sgpr8
.LBB13_564:
	s_sub_i32 s6, s12, 64
	s_add_i32 s8, s11, 2
.LBB13_565:
	s_waitcnt vmcnt(0)
	v_mad_u64_u32 v[1:2], null, s8, s10, v[0:1]
	v_mov_b32_e32 v2, 0
	s_cmp_lt_i32 s9, 21
	s_mov_b32 s11, 0
	v_lshlrev_b64 v[1:2], 2, v[1:2]
	v_add_co_u32 v1, vcc_lo, s0, v1
	v_add_co_ci_u32_e64 v2, null, s1, v2, vcc_lo
	global_load_dword v1, v[1:2], off
	s_cbranch_scc1 .LBB13_568
; %bb.566:
	s_cmp_eq_u32 s9, 21
	s_cbranch_scc0 .LBB13_569
; %bb.567:
	s_add_i32 s12, s8, 1
	s_waitcnt vmcnt(0)
	v_mad_u64_u32 v[2:3], null, s12, s10, v[0:1]
	v_mov_b32_e32 v3, 0
	s_mov_b32 s12, 0
	v_lshlrev_b64 v[2:3], 2, v[2:3]
	v_add_co_u32 v2, vcc_lo, s0, v2
	v_add_co_ci_u32_e64 v3, null, s1, v3, vcc_lo
	global_load_dword v2, v[2:3], off
	s_waitcnt vmcnt(0)
	v_alignbit_b32 v2, v2, v1, 31
	v_and_b32_e32 v27, 7, v2
	s_branch .LBB13_570
.LBB13_568:
	s_mov_b32 s12, 0
                                        ; implicit-def: $vgpr27
	s_cbranch_execnz .LBB13_571
	s_branch .LBB13_572
.LBB13_569:
	s_mov_b32 s12, -1
                                        ; implicit-def: $vgpr27
.LBB13_570:
	s_branch .LBB13_572
.LBB13_571:
	s_cmp_lg_u32 s9, 10
	s_mov_b32 s11, -1
	s_cselect_b32 s12, -1, 0
.LBB13_572:
	s_andn2_b32 vcc_lo, exec_lo, s12
	s_cbranch_vccz .LBB13_578
; %bb.573:
	s_andn2_b32 vcc_lo, exec_lo, s11
	s_cbranch_vccnz .LBB13_575
.LBB13_574:
	s_add_i32 s6, s8, 1
	s_waitcnt vmcnt(0)
	v_mad_u64_u32 v[2:3], null, s6, s10, v[0:1]
	v_mov_b32_e32 v3, 0
	v_lshlrev_b64 v[2:3], 2, v[2:3]
	v_add_co_u32 v2, vcc_lo, s0, v2
	v_add_co_ci_u32_e64 v3, null, s1, v3, vcc_lo
	global_load_dword v2, v[2:3], off
	s_waitcnt vmcnt(0)
	v_alignbit_b32 v1, v2, v1, 30
	v_and_b32_e32 v27, 7, v1
.LBB13_575:
	s_load_dword s6, s[4:5], 0x5c
	s_waitcnt lgkmcnt(0)
	s_ashr_i32 s8, s6, 31
	s_lshr_b32 s8, s8, 27
	s_add_i32 s9, s6, s8
	s_and_b32 s8, s9, 0xffffffe0
	s_ashr_i32 s11, s9, 5
	s_sub_i32 s8, s6, s8
	s_mul_i32 s11, s11, 3
	s_cmp_lt_i32 s8, 21
	s_cbranch_scc1 .LBB13_579
; %bb.576:
	s_cmp_eq_u32 s8, 21
	s_cbranch_scc0 .LBB13_580
; %bb.577:
	s_add_i32 s6, s11, 1
	s_mov_b32 s9, 0
	s_branch .LBB13_581
.LBB13_578:
	v_mov_b32_e32 v2, 0
	s_waitcnt vmcnt(0)
	v_lshrrev_b64 v[2:3], s6, v[1:2]
	v_and_b32_e32 v27, 7, v2
	s_cbranch_execz .LBB13_574
	s_branch .LBB13_575
.LBB13_579:
	s_mov_b32 s9, 0
                                        ; implicit-def: $sgpr6
	s_cbranch_execnz .LBB13_582
	s_branch .LBB13_583
.LBB13_580:
	s_mov_b32 s9, -1
                                        ; implicit-def: $sgpr6
.LBB13_581:
	s_branch .LBB13_583
.LBB13_582:
	s_cmp_lg_u32 s8, 10
	s_mov_b32 s6, s11
	s_cselect_b32 s9, -1, 0
.LBB13_583:
	s_andn2_b32 vcc_lo, exec_lo, s9
	s_mov_b32 s9, 2
	s_cbranch_vccnz .LBB13_590
; %bb.584:
	s_cmp_gt_i32 s8, 21
	s_mul_i32 s12, s8, 3
	s_cbranch_scc1 .LBB13_588
; %bb.585:
	s_cmp_lt_i32 s8, 11
	s_mov_b32 s9, s12
	s_mov_b32 s6, s11
	s_cbranch_scc1 .LBB13_587
; %bb.586:
	s_sub_i32 s9, s12, 32
	s_add_i32 s6, s11, 1
.LBB13_587:
	s_cbranch_execz .LBB13_589
	s_branch .LBB13_590
.LBB13_588:
                                        ; implicit-def: $sgpr9
                                        ; implicit-def: $sgpr6
.LBB13_589:
	s_sub_i32 s9, s12, 64
	s_add_i32 s6, s11, 2
.LBB13_590:
	s_waitcnt vmcnt(0)
	v_mad_u64_u32 v[1:2], null, s6, s10, v[0:1]
	v_mov_b32_e32 v2, 0
	s_cmp_lt_i32 s8, 21
	s_mov_b32 s11, 0
	v_lshlrev_b64 v[1:2], 2, v[1:2]
	v_add_co_u32 v1, vcc_lo, s0, v1
	v_add_co_ci_u32_e64 v2, null, s1, v2, vcc_lo
	global_load_dword v1, v[1:2], off
	s_cbranch_scc1 .LBB13_593
; %bb.591:
	s_cmp_eq_u32 s8, 21
	s_cbranch_scc0 .LBB13_594
; %bb.592:
	s_add_i32 s12, s6, 1
	s_waitcnt vmcnt(0)
	v_mad_u64_u32 v[2:3], null, s12, s10, v[0:1]
	v_mov_b32_e32 v3, 0
	s_mov_b32 s12, 0
	v_lshlrev_b64 v[2:3], 2, v[2:3]
	v_add_co_u32 v2, vcc_lo, s0, v2
	v_add_co_ci_u32_e64 v3, null, s1, v3, vcc_lo
	global_load_dword v2, v[2:3], off
	s_waitcnt vmcnt(0)
	v_alignbit_b32 v2, v2, v1, 31
	v_and_b32_e32 v28, 7, v2
	s_branch .LBB13_595
.LBB13_593:
	s_mov_b32 s12, 0
                                        ; implicit-def: $vgpr28
	s_cbranch_execnz .LBB13_596
	s_branch .LBB13_597
.LBB13_594:
	s_mov_b32 s12, -1
                                        ; implicit-def: $vgpr28
.LBB13_595:
	s_branch .LBB13_597
.LBB13_596:
	s_cmp_lg_u32 s8, 10
	s_mov_b32 s11, -1
	s_cselect_b32 s12, -1, 0
.LBB13_597:
	s_andn2_b32 vcc_lo, exec_lo, s12
	s_cbranch_vccz .LBB13_603
; %bb.598:
	s_andn2_b32 vcc_lo, exec_lo, s11
	s_cbranch_vccnz .LBB13_600
.LBB13_599:
	s_add_i32 s6, s6, 1
	s_waitcnt vmcnt(0)
	v_mad_u64_u32 v[2:3], null, s6, s10, v[0:1]
	v_mov_b32_e32 v3, 0
	v_lshlrev_b64 v[2:3], 2, v[2:3]
	v_add_co_u32 v2, vcc_lo, s0, v2
	v_add_co_ci_u32_e64 v3, null, s1, v3, vcc_lo
	global_load_dword v2, v[2:3], off
	s_waitcnt vmcnt(0)
	v_alignbit_b32 v1, v2, v1, 30
	v_and_b32_e32 v28, 7, v1
.LBB13_600:
	s_load_dword s6, s[4:5], 0x60
	s_waitcnt lgkmcnt(0)
	s_ashr_i32 s8, s6, 31
	s_lshr_b32 s8, s8, 27
	s_add_i32 s9, s6, s8
	s_and_b32 s8, s9, 0xffffffe0
	s_ashr_i32 s11, s9, 5
	s_sub_i32 s8, s6, s8
	s_mul_i32 s11, s11, 3
	s_cmp_lt_i32 s8, 21
	s_cbranch_scc1 .LBB13_604
; %bb.601:
	s_cmp_eq_u32 s8, 21
	s_cbranch_scc0 .LBB13_605
; %bb.602:
	s_add_i32 s6, s11, 1
	s_mov_b32 s9, 0
	s_branch .LBB13_606
.LBB13_603:
	v_mov_b32_e32 v2, 0
	s_waitcnt vmcnt(0)
	v_lshrrev_b64 v[2:3], s9, v[1:2]
	v_and_b32_e32 v28, 7, v2
	s_cbranch_execz .LBB13_599
	s_branch .LBB13_600
.LBB13_604:
	s_mov_b32 s9, 0
                                        ; implicit-def: $sgpr6
	s_cbranch_execnz .LBB13_607
	s_branch .LBB13_608
.LBB13_605:
	s_mov_b32 s9, -1
                                        ; implicit-def: $sgpr6
.LBB13_606:
	s_branch .LBB13_608
.LBB13_607:
	s_cmp_lg_u32 s8, 10
	s_mov_b32 s6, s11
	s_cselect_b32 s9, -1, 0
.LBB13_608:
	s_andn2_b32 vcc_lo, exec_lo, s9
	s_mov_b32 s9, 5
	s_cbranch_vccnz .LBB13_615
; %bb.609:
	s_cmp_gt_i32 s8, 21
	s_mul_i32 s12, s8, 3
	s_cbranch_scc1 .LBB13_613
; %bb.610:
	s_cmp_lt_i32 s8, 11
	s_mov_b32 s9, s12
	s_mov_b32 s6, s11
	s_cbranch_scc1 .LBB13_612
; %bb.611:
	s_sub_i32 s9, s12, 32
	s_add_i32 s6, s11, 1
.LBB13_612:
	s_cbranch_execz .LBB13_614
	s_branch .LBB13_615
.LBB13_613:
                                        ; implicit-def: $sgpr9
                                        ; implicit-def: $sgpr6
.LBB13_614:
	s_sub_i32 s9, s12, 64
	s_add_i32 s6, s11, 2
.LBB13_615:
	s_waitcnt vmcnt(0)
	v_mad_u64_u32 v[1:2], null, s6, s10, v[0:1]
	v_mov_b32_e32 v2, 0
	s_cmp_lt_i32 s8, 21
	s_mov_b32 s11, 0
	v_lshlrev_b64 v[1:2], 2, v[1:2]
	v_add_co_u32 v1, vcc_lo, s0, v1
	v_add_co_ci_u32_e64 v2, null, s1, v2, vcc_lo
	global_load_dword v1, v[1:2], off
	s_cbranch_scc1 .LBB13_618
; %bb.616:
	s_cmp_eq_u32 s8, 21
	s_cbranch_scc0 .LBB13_619
; %bb.617:
	s_add_i32 s12, s6, 1
	s_waitcnt vmcnt(0)
	v_mad_u64_u32 v[2:3], null, s12, s10, v[0:1]
	v_mov_b32_e32 v3, 0
	s_mov_b32 s12, 0
	v_lshlrev_b64 v[2:3], 2, v[2:3]
	v_add_co_u32 v2, vcc_lo, s0, v2
	v_add_co_ci_u32_e64 v3, null, s1, v3, vcc_lo
	global_load_dword v2, v[2:3], off
	s_waitcnt vmcnt(0)
	v_alignbit_b32 v2, v2, v1, 31
	v_and_b32_e32 v29, 7, v2
	s_branch .LBB13_620
.LBB13_618:
	s_mov_b32 s12, 0
                                        ; implicit-def: $vgpr29
	s_cbranch_execnz .LBB13_621
	s_branch .LBB13_622
.LBB13_619:
	s_mov_b32 s12, -1
                                        ; implicit-def: $vgpr29
.LBB13_620:
	s_branch .LBB13_622
.LBB13_621:
	s_cmp_lg_u32 s8, 10
	s_mov_b32 s11, -1
	s_cselect_b32 s12, -1, 0
.LBB13_622:
	s_andn2_b32 vcc_lo, exec_lo, s12
	s_cbranch_vccz .LBB13_628
; %bb.623:
	s_andn2_b32 vcc_lo, exec_lo, s11
	s_cbranch_vccnz .LBB13_625
.LBB13_624:
	s_add_i32 s6, s6, 1
	s_waitcnt vmcnt(0)
	v_mad_u64_u32 v[2:3], null, s6, s10, v[0:1]
	v_mov_b32_e32 v3, 0
	v_lshlrev_b64 v[2:3], 2, v[2:3]
	v_add_co_u32 v2, vcc_lo, s0, v2
	v_add_co_ci_u32_e64 v3, null, s1, v3, vcc_lo
	global_load_dword v2, v[2:3], off
	s_waitcnt vmcnt(0)
	v_alignbit_b32 v1, v2, v1, 30
	v_and_b32_e32 v29, 7, v1
.LBB13_625:
	s_load_dword s6, s[4:5], 0x64
	s_waitcnt lgkmcnt(0)
	s_ashr_i32 s8, s6, 31
	s_lshr_b32 s8, s8, 27
	s_add_i32 s9, s6, s8
	s_and_b32 s8, s9, 0xffffffe0
	s_ashr_i32 s11, s9, 5
	s_sub_i32 s8, s6, s8
	s_mul_i32 s11, s11, 3
	s_cmp_lt_i32 s8, 21
	s_cbranch_scc1 .LBB13_629
; %bb.626:
	s_cmp_eq_u32 s8, 21
	s_cbranch_scc0 .LBB13_630
; %bb.627:
	s_add_i32 s6, s11, 1
	s_mov_b32 s9, 0
	s_branch .LBB13_631
.LBB13_628:
	v_mov_b32_e32 v2, 0
	s_waitcnt vmcnt(0)
	v_lshrrev_b64 v[2:3], s9, v[1:2]
	v_and_b32_e32 v29, 7, v2
	s_cbranch_execz .LBB13_624
	s_branch .LBB13_625
.LBB13_629:
	s_mov_b32 s9, 0
                                        ; implicit-def: $sgpr6
	s_cbranch_execnz .LBB13_632
	s_branch .LBB13_633
.LBB13_630:
	s_mov_b32 s9, -1
                                        ; implicit-def: $sgpr6
.LBB13_631:
	s_branch .LBB13_633
.LBB13_632:
	s_cmp_lg_u32 s8, 10
	s_mov_b32 s6, s11
	s_cselect_b32 s9, -1, 0
.LBB13_633:
	s_andn2_b32 vcc_lo, exec_lo, s9
	s_mov_b32 s9, 8
	s_cbranch_vccnz .LBB13_640
; %bb.634:
	s_cmp_gt_i32 s8, 21
	s_mul_i32 s12, s8, 3
	s_cbranch_scc1 .LBB13_638
; %bb.635:
	s_cmp_lt_i32 s8, 11
	s_mov_b32 s9, s12
	s_mov_b32 s6, s11
	s_cbranch_scc1 .LBB13_637
; %bb.636:
	s_sub_i32 s9, s12, 32
	s_add_i32 s6, s11, 1
.LBB13_637:
	s_cbranch_execz .LBB13_639
	s_branch .LBB13_640
.LBB13_638:
                                        ; implicit-def: $sgpr9
                                        ; implicit-def: $sgpr6
.LBB13_639:
	s_sub_i32 s9, s12, 64
	s_add_i32 s6, s11, 2
.LBB13_640:
	s_waitcnt vmcnt(0)
	v_mad_u64_u32 v[1:2], null, s6, s10, v[0:1]
	v_mov_b32_e32 v2, 0
	s_cmp_lt_i32 s8, 21
	s_mov_b32 s11, 0
	v_lshlrev_b64 v[1:2], 2, v[1:2]
	v_add_co_u32 v1, vcc_lo, s0, v1
	v_add_co_ci_u32_e64 v2, null, s1, v2, vcc_lo
	global_load_dword v1, v[1:2], off
	s_cbranch_scc1 .LBB13_643
; %bb.641:
	s_cmp_eq_u32 s8, 21
	s_cbranch_scc0 .LBB13_644
; %bb.642:
	s_add_i32 s12, s6, 1
	s_waitcnt vmcnt(0)
	v_mad_u64_u32 v[2:3], null, s12, s10, v[0:1]
	v_mov_b32_e32 v3, 0
	s_mov_b32 s12, 0
	v_lshlrev_b64 v[2:3], 2, v[2:3]
	v_add_co_u32 v2, vcc_lo, s0, v2
	v_add_co_ci_u32_e64 v3, null, s1, v3, vcc_lo
	global_load_dword v2, v[2:3], off
	s_waitcnt vmcnt(0)
	v_alignbit_b32 v2, v2, v1, 31
	v_and_b32_e32 v30, 7, v2
	s_branch .LBB13_645
.LBB13_643:
	s_mov_b32 s12, 0
                                        ; implicit-def: $vgpr30
	s_cbranch_execnz .LBB13_646
	s_branch .LBB13_647
.LBB13_644:
	s_mov_b32 s12, -1
                                        ; implicit-def: $vgpr30
.LBB13_645:
	s_branch .LBB13_647
.LBB13_646:
	s_cmp_lg_u32 s8, 10
	s_mov_b32 s11, -1
	s_cselect_b32 s12, -1, 0
.LBB13_647:
	s_andn2_b32 vcc_lo, exec_lo, s12
	s_cbranch_vccz .LBB13_653
; %bb.648:
	s_andn2_b32 vcc_lo, exec_lo, s11
	s_cbranch_vccnz .LBB13_650
.LBB13_649:
	s_add_i32 s6, s6, 1
	s_waitcnt vmcnt(0)
	v_mad_u64_u32 v[2:3], null, s6, s10, v[0:1]
	v_mov_b32_e32 v3, 0
	v_lshlrev_b64 v[2:3], 2, v[2:3]
	v_add_co_u32 v2, vcc_lo, s0, v2
	v_add_co_ci_u32_e64 v3, null, s1, v3, vcc_lo
	global_load_dword v2, v[2:3], off
	s_waitcnt vmcnt(0)
	v_alignbit_b32 v1, v2, v1, 30
	v_and_b32_e32 v30, 7, v1
.LBB13_650:
	s_load_dword s6, s[4:5], 0x68
	s_waitcnt lgkmcnt(0)
	s_ashr_i32 s8, s6, 31
	s_lshr_b32 s8, s8, 27
	s_add_i32 s9, s6, s8
	s_and_b32 s8, s9, 0xffffffe0
	s_ashr_i32 s11, s9, 5
	s_sub_i32 s8, s6, s8
	s_mul_i32 s11, s11, 3
	s_cmp_lt_i32 s8, 21
	s_cbranch_scc1 .LBB13_654
; %bb.651:
	s_cmp_eq_u32 s8, 21
	s_cbranch_scc0 .LBB13_655
; %bb.652:
	s_add_i32 s6, s11, 1
	s_mov_b32 s9, 0
	s_branch .LBB13_656
.LBB13_653:
	v_mov_b32_e32 v2, 0
	s_waitcnt vmcnt(0)
	v_lshrrev_b64 v[2:3], s9, v[1:2]
	v_and_b32_e32 v30, 7, v2
	s_cbranch_execz .LBB13_649
	s_branch .LBB13_650
.LBB13_654:
	s_mov_b32 s9, 0
                                        ; implicit-def: $sgpr6
	s_cbranch_execnz .LBB13_657
	s_branch .LBB13_658
.LBB13_655:
	s_mov_b32 s9, -1
                                        ; implicit-def: $sgpr6
.LBB13_656:
	s_branch .LBB13_658
.LBB13_657:
	s_cmp_lg_u32 s8, 10
	s_mov_b32 s6, s11
	s_cselect_b32 s9, -1, 0
.LBB13_658:
	s_andn2_b32 vcc_lo, exec_lo, s9
	s_mov_b32 s9, 11
	s_cbranch_vccnz .LBB13_665
; %bb.659:
	s_cmp_gt_i32 s8, 21
	s_mul_i32 s12, s8, 3
	s_cbranch_scc1 .LBB13_663
; %bb.660:
	s_cmp_lt_i32 s8, 11
	s_mov_b32 s9, s12
	s_mov_b32 s6, s11
	s_cbranch_scc1 .LBB13_662
; %bb.661:
	s_sub_i32 s9, s12, 32
	s_add_i32 s6, s11, 1
.LBB13_662:
	s_cbranch_execz .LBB13_664
	s_branch .LBB13_665
.LBB13_663:
                                        ; implicit-def: $sgpr9
                                        ; implicit-def: $sgpr6
.LBB13_664:
	s_sub_i32 s9, s12, 64
	s_add_i32 s6, s11, 2
.LBB13_665:
	s_waitcnt vmcnt(0)
	v_mad_u64_u32 v[1:2], null, s6, s10, v[0:1]
	v_mov_b32_e32 v2, 0
	s_cmp_lt_i32 s8, 21
	s_mov_b32 s11, 0
	v_lshlrev_b64 v[1:2], 2, v[1:2]
	v_add_co_u32 v1, vcc_lo, s0, v1
	v_add_co_ci_u32_e64 v2, null, s1, v2, vcc_lo
	global_load_dword v1, v[1:2], off
	s_cbranch_scc1 .LBB13_668
; %bb.666:
	s_cmp_eq_u32 s8, 21
	s_cbranch_scc0 .LBB13_669
; %bb.667:
	s_add_i32 s12, s6, 1
	s_waitcnt vmcnt(0)
	v_mad_u64_u32 v[2:3], null, s12, s10, v[0:1]
	v_mov_b32_e32 v3, 0
	s_mov_b32 s12, 0
	v_lshlrev_b64 v[2:3], 2, v[2:3]
	v_add_co_u32 v2, vcc_lo, s0, v2
	v_add_co_ci_u32_e64 v3, null, s1, v3, vcc_lo
	global_load_dword v2, v[2:3], off
	s_waitcnt vmcnt(0)
	v_alignbit_b32 v2, v2, v1, 31
	v_and_b32_e32 v31, 7, v2
	s_branch .LBB13_670
.LBB13_668:
	s_mov_b32 s12, 0
                                        ; implicit-def: $vgpr31
	s_cbranch_execnz .LBB13_671
	s_branch .LBB13_672
.LBB13_669:
	s_mov_b32 s12, -1
                                        ; implicit-def: $vgpr31
.LBB13_670:
	s_branch .LBB13_672
.LBB13_671:
	s_cmp_lg_u32 s8, 10
	s_mov_b32 s11, -1
	s_cselect_b32 s12, -1, 0
.LBB13_672:
	s_andn2_b32 vcc_lo, exec_lo, s12
	s_cbranch_vccz .LBB13_678
; %bb.673:
	s_andn2_b32 vcc_lo, exec_lo, s11
	s_cbranch_vccnz .LBB13_675
.LBB13_674:
	s_add_i32 s6, s6, 1
	s_waitcnt vmcnt(0)
	v_mad_u64_u32 v[2:3], null, s6, s10, v[0:1]
	v_mov_b32_e32 v3, 0
	v_lshlrev_b64 v[2:3], 2, v[2:3]
	v_add_co_u32 v2, vcc_lo, s0, v2
	v_add_co_ci_u32_e64 v3, null, s1, v3, vcc_lo
	global_load_dword v2, v[2:3], off
	s_waitcnt vmcnt(0)
	v_alignbit_b32 v1, v2, v1, 30
	v_and_b32_e32 v31, 7, v1
.LBB13_675:
	s_load_dword s6, s[4:5], 0x6c
	s_waitcnt lgkmcnt(0)
	s_ashr_i32 s8, s6, 31
	s_lshr_b32 s8, s8, 27
	s_add_i32 s9, s6, s8
	s_and_b32 s8, s9, 0xffffffe0
	s_ashr_i32 s11, s9, 5
	s_sub_i32 s8, s6, s8
	s_mul_i32 s11, s11, 3
	s_cmp_lt_i32 s8, 21
	s_cbranch_scc1 .LBB13_679
; %bb.676:
	s_cmp_eq_u32 s8, 21
	s_cbranch_scc0 .LBB13_680
; %bb.677:
	s_add_i32 s6, s11, 1
	s_mov_b32 s9, 0
	s_branch .LBB13_681
.LBB13_678:
	v_mov_b32_e32 v2, 0
	s_waitcnt vmcnt(0)
	v_lshrrev_b64 v[2:3], s9, v[1:2]
	v_and_b32_e32 v31, 7, v2
	s_cbranch_execz .LBB13_674
	s_branch .LBB13_675
.LBB13_679:
	s_mov_b32 s9, 0
                                        ; implicit-def: $sgpr6
	s_cbranch_execnz .LBB13_682
	s_branch .LBB13_683
.LBB13_680:
	s_mov_b32 s9, -1
                                        ; implicit-def: $sgpr6
.LBB13_681:
	s_branch .LBB13_683
.LBB13_682:
	s_cmp_lg_u32 s8, 10
	s_mov_b32 s6, s11
	s_cselect_b32 s9, -1, 0
.LBB13_683:
	s_andn2_b32 vcc_lo, exec_lo, s9
	s_mov_b32 s9, 14
	s_cbranch_vccnz .LBB13_690
; %bb.684:
	s_cmp_gt_i32 s8, 21
	s_mul_i32 s12, s8, 3
	s_cbranch_scc1 .LBB13_688
; %bb.685:
	s_cmp_lt_i32 s8, 11
	s_mov_b32 s9, s12
	s_mov_b32 s6, s11
	s_cbranch_scc1 .LBB13_687
; %bb.686:
	s_sub_i32 s9, s12, 32
	s_add_i32 s6, s11, 1
.LBB13_687:
	s_cbranch_execz .LBB13_689
	s_branch .LBB13_690
.LBB13_688:
                                        ; implicit-def: $sgpr9
                                        ; implicit-def: $sgpr6
.LBB13_689:
	s_sub_i32 s9, s12, 64
	s_add_i32 s6, s11, 2
.LBB13_690:
	s_waitcnt vmcnt(0)
	v_mad_u64_u32 v[1:2], null, s6, s10, v[0:1]
	v_mov_b32_e32 v2, 0
	s_cmp_lt_i32 s8, 21
	s_mov_b32 s11, 0
	v_lshlrev_b64 v[1:2], 2, v[1:2]
	v_add_co_u32 v1, vcc_lo, s0, v1
	v_add_co_ci_u32_e64 v2, null, s1, v2, vcc_lo
	global_load_dword v1, v[1:2], off
	s_cbranch_scc1 .LBB13_693
; %bb.691:
	s_cmp_eq_u32 s8, 21
	s_cbranch_scc0 .LBB13_694
; %bb.692:
	s_add_i32 s12, s6, 1
	s_waitcnt vmcnt(0)
	v_mad_u64_u32 v[2:3], null, s12, s10, v[0:1]
	v_mov_b32_e32 v3, 0
	s_mov_b32 s12, 0
	v_lshlrev_b64 v[2:3], 2, v[2:3]
	v_add_co_u32 v2, vcc_lo, s0, v2
	v_add_co_ci_u32_e64 v3, null, s1, v3, vcc_lo
	global_load_dword v2, v[2:3], off
	s_waitcnt vmcnt(0)
	v_alignbit_b32 v2, v2, v1, 31
	v_and_b32_e32 v32, 7, v2
	s_branch .LBB13_695
.LBB13_693:
	s_mov_b32 s12, 0
                                        ; implicit-def: $vgpr32
	s_cbranch_execnz .LBB13_696
	s_branch .LBB13_697
.LBB13_694:
	s_mov_b32 s12, -1
                                        ; implicit-def: $vgpr32
.LBB13_695:
	s_branch .LBB13_697
.LBB13_696:
	s_cmp_lg_u32 s8, 10
	s_mov_b32 s11, -1
	s_cselect_b32 s12, -1, 0
.LBB13_697:
	s_andn2_b32 vcc_lo, exec_lo, s12
	s_cbranch_vccz .LBB13_703
; %bb.698:
	s_andn2_b32 vcc_lo, exec_lo, s11
	s_cbranch_vccnz .LBB13_700
.LBB13_699:
	s_add_i32 s6, s6, 1
	s_waitcnt vmcnt(0)
	v_mad_u64_u32 v[2:3], null, s6, s10, v[0:1]
	v_mov_b32_e32 v3, 0
	v_lshlrev_b64 v[2:3], 2, v[2:3]
	v_add_co_u32 v2, vcc_lo, s0, v2
	v_add_co_ci_u32_e64 v3, null, s1, v3, vcc_lo
	global_load_dword v2, v[2:3], off
	s_waitcnt vmcnt(0)
	v_alignbit_b32 v1, v2, v1, 30
	v_and_b32_e32 v32, 7, v1
.LBB13_700:
	s_load_dword s6, s[4:5], 0x70
	s_waitcnt lgkmcnt(0)
	s_ashr_i32 s8, s6, 31
	s_lshr_b32 s8, s8, 27
	s_add_i32 s9, s6, s8
	s_and_b32 s8, s9, 0xffffffe0
	s_ashr_i32 s11, s9, 5
	s_sub_i32 s8, s6, s8
	s_mul_i32 s11, s11, 3
	s_cmp_lt_i32 s8, 21
	s_cbranch_scc1 .LBB13_704
; %bb.701:
	s_cmp_eq_u32 s8, 21
	s_cbranch_scc0 .LBB13_705
; %bb.702:
	s_add_i32 s6, s11, 1
	s_mov_b32 s9, 0
	s_branch .LBB13_706
.LBB13_703:
	v_mov_b32_e32 v2, 0
	s_waitcnt vmcnt(0)
	v_lshrrev_b64 v[2:3], s9, v[1:2]
	v_and_b32_e32 v32, 7, v2
	s_cbranch_execz .LBB13_699
	s_branch .LBB13_700
.LBB13_704:
	s_mov_b32 s9, 0
                                        ; implicit-def: $sgpr6
	s_cbranch_execnz .LBB13_707
	s_branch .LBB13_708
.LBB13_705:
	s_mov_b32 s9, -1
                                        ; implicit-def: $sgpr6
.LBB13_706:
	s_branch .LBB13_708
.LBB13_707:
	s_cmp_lg_u32 s8, 10
	s_mov_b32 s6, s11
	s_cselect_b32 s9, -1, 0
.LBB13_708:
	s_andn2_b32 vcc_lo, exec_lo, s9
	s_mov_b32 s9, 17
	s_cbranch_vccnz .LBB13_715
; %bb.709:
	s_cmp_gt_i32 s8, 21
	s_mul_i32 s12, s8, 3
	s_cbranch_scc1 .LBB13_713
; %bb.710:
	s_cmp_lt_i32 s8, 11
	s_mov_b32 s9, s12
	s_mov_b32 s6, s11
	s_cbranch_scc1 .LBB13_712
; %bb.711:
	s_sub_i32 s9, s12, 32
	s_add_i32 s6, s11, 1
.LBB13_712:
	s_cbranch_execz .LBB13_714
	s_branch .LBB13_715
.LBB13_713:
                                        ; implicit-def: $sgpr9
                                        ; implicit-def: $sgpr6
.LBB13_714:
	s_sub_i32 s9, s12, 64
	s_add_i32 s6, s11, 2
.LBB13_715:
	s_waitcnt vmcnt(0)
	v_mad_u64_u32 v[1:2], null, s6, s10, v[0:1]
	v_mov_b32_e32 v2, 0
	s_cmp_lt_i32 s8, 21
	s_mov_b32 s11, 0
	v_lshlrev_b64 v[1:2], 2, v[1:2]
	v_add_co_u32 v1, vcc_lo, s0, v1
	v_add_co_ci_u32_e64 v2, null, s1, v2, vcc_lo
	global_load_dword v1, v[1:2], off
	s_cbranch_scc1 .LBB13_718
; %bb.716:
	s_cmp_eq_u32 s8, 21
	s_cbranch_scc0 .LBB13_719
; %bb.717:
	s_add_i32 s12, s6, 1
	s_waitcnt vmcnt(0)
	v_mad_u64_u32 v[2:3], null, s12, s10, v[0:1]
	v_mov_b32_e32 v3, 0
	s_mov_b32 s12, 0
	v_lshlrev_b64 v[2:3], 2, v[2:3]
	v_add_co_u32 v2, vcc_lo, s0, v2
	v_add_co_ci_u32_e64 v3, null, s1, v3, vcc_lo
	global_load_dword v2, v[2:3], off
	s_waitcnt vmcnt(0)
	v_alignbit_b32 v2, v2, v1, 31
	v_and_b32_e32 v33, 7, v2
	s_branch .LBB13_720
.LBB13_718:
	s_mov_b32 s12, 0
                                        ; implicit-def: $vgpr33
	s_cbranch_execnz .LBB13_721
	s_branch .LBB13_722
.LBB13_719:
	s_mov_b32 s12, -1
                                        ; implicit-def: $vgpr33
.LBB13_720:
	s_branch .LBB13_722
.LBB13_721:
	s_cmp_lg_u32 s8, 10
	s_mov_b32 s11, -1
	s_cselect_b32 s12, -1, 0
.LBB13_722:
	s_andn2_b32 vcc_lo, exec_lo, s12
	s_cbranch_vccz .LBB13_728
; %bb.723:
	s_andn2_b32 vcc_lo, exec_lo, s11
	s_cbranch_vccnz .LBB13_725
.LBB13_724:
	s_add_i32 s6, s6, 1
	s_waitcnt vmcnt(0)
	v_mad_u64_u32 v[2:3], null, s6, s10, v[0:1]
	v_mov_b32_e32 v3, 0
	v_lshlrev_b64 v[2:3], 2, v[2:3]
	v_add_co_u32 v2, vcc_lo, s0, v2
	v_add_co_ci_u32_e64 v3, null, s1, v3, vcc_lo
	global_load_dword v2, v[2:3], off
	s_waitcnt vmcnt(0)
	v_alignbit_b32 v1, v2, v1, 30
	v_and_b32_e32 v33, 7, v1
.LBB13_725:
	s_load_dword s6, s[4:5], 0x74
	s_waitcnt lgkmcnt(0)
	s_ashr_i32 s8, s6, 31
	s_lshr_b32 s8, s8, 27
	s_add_i32 s9, s6, s8
	s_and_b32 s8, s9, 0xffffffe0
	s_ashr_i32 s11, s9, 5
	s_sub_i32 s8, s6, s8
	s_mul_i32 s11, s11, 3
	s_cmp_lt_i32 s8, 21
	s_cbranch_scc1 .LBB13_729
; %bb.726:
	s_cmp_eq_u32 s8, 21
	s_cbranch_scc0 .LBB13_730
; %bb.727:
	s_add_i32 s6, s11, 1
	s_mov_b32 s9, 0
	s_branch .LBB13_731
.LBB13_728:
	v_mov_b32_e32 v2, 0
	s_waitcnt vmcnt(0)
	v_lshrrev_b64 v[2:3], s9, v[1:2]
	v_and_b32_e32 v33, 7, v2
	s_cbranch_execz .LBB13_724
	s_branch .LBB13_725
.LBB13_729:
	s_mov_b32 s9, 0
                                        ; implicit-def: $sgpr6
	s_cbranch_execnz .LBB13_732
	s_branch .LBB13_733
.LBB13_730:
	s_mov_b32 s9, -1
                                        ; implicit-def: $sgpr6
.LBB13_731:
	s_branch .LBB13_733
.LBB13_732:
	s_cmp_lg_u32 s8, 10
	s_mov_b32 s6, s11
	s_cselect_b32 s9, -1, 0
.LBB13_733:
	s_andn2_b32 vcc_lo, exec_lo, s9
	s_mov_b32 s9, 20
	s_cbranch_vccnz .LBB13_740
; %bb.734:
	s_cmp_gt_i32 s8, 21
	s_mul_i32 s12, s8, 3
	s_cbranch_scc1 .LBB13_738
; %bb.735:
	s_cmp_lt_i32 s8, 11
	s_mov_b32 s9, s12
	s_mov_b32 s6, s11
	s_cbranch_scc1 .LBB13_737
; %bb.736:
	s_sub_i32 s9, s12, 32
	s_add_i32 s6, s11, 1
.LBB13_737:
	s_cbranch_execz .LBB13_739
	s_branch .LBB13_740
.LBB13_738:
                                        ; implicit-def: $sgpr9
                                        ; implicit-def: $sgpr6
.LBB13_739:
	s_sub_i32 s9, s12, 64
	s_add_i32 s6, s11, 2
.LBB13_740:
	s_waitcnt vmcnt(0)
	v_mad_u64_u32 v[1:2], null, s6, s10, v[0:1]
	v_mov_b32_e32 v2, 0
	s_cmp_lt_i32 s8, 21
	s_mov_b32 s11, 0
	v_lshlrev_b64 v[1:2], 2, v[1:2]
	v_add_co_u32 v1, vcc_lo, s0, v1
	v_add_co_ci_u32_e64 v2, null, s1, v2, vcc_lo
	global_load_dword v1, v[1:2], off
	s_cbranch_scc1 .LBB13_743
; %bb.741:
	s_cmp_eq_u32 s8, 21
	s_cbranch_scc0 .LBB13_744
; %bb.742:
	s_add_i32 s12, s6, 1
	s_waitcnt vmcnt(0)
	v_mad_u64_u32 v[2:3], null, s12, s10, v[0:1]
	v_mov_b32_e32 v3, 0
	s_mov_b32 s12, 0
	v_lshlrev_b64 v[2:3], 2, v[2:3]
	v_add_co_u32 v2, vcc_lo, s0, v2
	v_add_co_ci_u32_e64 v3, null, s1, v3, vcc_lo
	global_load_dword v2, v[2:3], off
	s_waitcnt vmcnt(0)
	v_alignbit_b32 v2, v2, v1, 31
	v_and_b32_e32 v34, 7, v2
	s_branch .LBB13_745
.LBB13_743:
	s_mov_b32 s12, 0
                                        ; implicit-def: $vgpr34
	s_cbranch_execnz .LBB13_746
	s_branch .LBB13_747
.LBB13_744:
	s_mov_b32 s12, -1
                                        ; implicit-def: $vgpr34
.LBB13_745:
	s_branch .LBB13_747
.LBB13_746:
	s_cmp_lg_u32 s8, 10
	s_mov_b32 s11, -1
	s_cselect_b32 s12, -1, 0
.LBB13_747:
	s_andn2_b32 vcc_lo, exec_lo, s12
	s_cbranch_vccz .LBB13_753
; %bb.748:
	s_andn2_b32 vcc_lo, exec_lo, s11
	s_cbranch_vccnz .LBB13_750
.LBB13_749:
	s_add_i32 s6, s6, 1
	s_waitcnt vmcnt(0)
	v_mad_u64_u32 v[2:3], null, s6, s10, v[0:1]
	v_mov_b32_e32 v3, 0
	v_lshlrev_b64 v[2:3], 2, v[2:3]
	v_add_co_u32 v2, vcc_lo, s0, v2
	v_add_co_ci_u32_e64 v3, null, s1, v3, vcc_lo
	global_load_dword v2, v[2:3], off
	s_waitcnt vmcnt(0)
	v_alignbit_b32 v1, v2, v1, 30
	v_and_b32_e32 v34, 7, v1
.LBB13_750:
	s_load_dword s6, s[4:5], 0x78
	s_waitcnt lgkmcnt(0)
	s_ashr_i32 s8, s6, 31
	s_lshr_b32 s8, s8, 27
	s_add_i32 s9, s6, s8
	s_and_b32 s8, s9, 0xffffffe0
	s_ashr_i32 s11, s9, 5
	s_sub_i32 s8, s6, s8
	s_mul_i32 s11, s11, 3
	s_cmp_lt_i32 s8, 21
	s_cbranch_scc1 .LBB13_754
; %bb.751:
	s_cmp_eq_u32 s8, 21
	s_cbranch_scc0 .LBB13_755
; %bb.752:
	s_add_i32 s6, s11, 1
	s_mov_b32 s9, 0
	s_branch .LBB13_756
.LBB13_753:
	v_mov_b32_e32 v2, 0
	s_waitcnt vmcnt(0)
	v_lshrrev_b64 v[2:3], s9, v[1:2]
	v_and_b32_e32 v34, 7, v2
	s_cbranch_execz .LBB13_749
	s_branch .LBB13_750
.LBB13_754:
	s_mov_b32 s9, 0
                                        ; implicit-def: $sgpr6
	s_cbranch_execnz .LBB13_757
	s_branch .LBB13_758
.LBB13_755:
	s_mov_b32 s9, -1
                                        ; implicit-def: $sgpr6
.LBB13_756:
	s_branch .LBB13_758
.LBB13_757:
	s_cmp_lg_u32 s8, 10
	s_mov_b32 s6, s11
	s_cselect_b32 s9, -1, 0
.LBB13_758:
	s_andn2_b32 vcc_lo, exec_lo, s9
	s_mov_b32 s9, 23
	s_cbranch_vccnz .LBB13_765
; %bb.759:
	s_cmp_gt_i32 s8, 21
	s_mul_i32 s12, s8, 3
	s_cbranch_scc1 .LBB13_763
; %bb.760:
	s_cmp_lt_i32 s8, 11
	s_mov_b32 s9, s12
	s_mov_b32 s6, s11
	s_cbranch_scc1 .LBB13_762
; %bb.761:
	s_sub_i32 s9, s12, 32
	s_add_i32 s6, s11, 1
.LBB13_762:
	s_cbranch_execz .LBB13_764
	s_branch .LBB13_765
.LBB13_763:
                                        ; implicit-def: $sgpr9
                                        ; implicit-def: $sgpr6
.LBB13_764:
	s_sub_i32 s9, s12, 64
	s_add_i32 s6, s11, 2
.LBB13_765:
	s_waitcnt vmcnt(0)
	v_mad_u64_u32 v[1:2], null, s6, s10, v[0:1]
	v_mov_b32_e32 v2, 0
	s_cmp_lt_i32 s8, 21
	s_mov_b32 s11, 0
	v_lshlrev_b64 v[1:2], 2, v[1:2]
	v_add_co_u32 v1, vcc_lo, s0, v1
	v_add_co_ci_u32_e64 v2, null, s1, v2, vcc_lo
	global_load_dword v1, v[1:2], off
	s_cbranch_scc1 .LBB13_768
; %bb.766:
	s_cmp_eq_u32 s8, 21
	s_cbranch_scc0 .LBB13_769
; %bb.767:
	s_add_i32 s12, s6, 1
	s_waitcnt vmcnt(0)
	v_mad_u64_u32 v[2:3], null, s12, s10, v[0:1]
	v_mov_b32_e32 v3, 0
	s_mov_b32 s12, 0
	v_lshlrev_b64 v[2:3], 2, v[2:3]
	v_add_co_u32 v2, vcc_lo, s0, v2
	v_add_co_ci_u32_e64 v3, null, s1, v3, vcc_lo
	global_load_dword v2, v[2:3], off
	s_waitcnt vmcnt(0)
	v_alignbit_b32 v2, v2, v1, 31
	v_and_b32_e32 v35, 7, v2
	s_branch .LBB13_770
.LBB13_768:
	s_mov_b32 s12, 0
                                        ; implicit-def: $vgpr35
	s_cbranch_execnz .LBB13_771
	s_branch .LBB13_772
.LBB13_769:
	s_mov_b32 s12, -1
                                        ; implicit-def: $vgpr35
.LBB13_770:
	s_branch .LBB13_772
.LBB13_771:
	s_cmp_lg_u32 s8, 10
	s_mov_b32 s11, -1
	s_cselect_b32 s12, -1, 0
.LBB13_772:
	s_andn2_b32 vcc_lo, exec_lo, s12
	s_cbranch_vccz .LBB13_778
; %bb.773:
	s_andn2_b32 vcc_lo, exec_lo, s11
	s_cbranch_vccnz .LBB13_775
.LBB13_774:
	s_add_i32 s6, s6, 1
	s_waitcnt vmcnt(0)
	v_mad_u64_u32 v[2:3], null, s6, s10, v[0:1]
	v_mov_b32_e32 v3, 0
	v_lshlrev_b64 v[2:3], 2, v[2:3]
	v_add_co_u32 v2, vcc_lo, s0, v2
	v_add_co_ci_u32_e64 v3, null, s1, v3, vcc_lo
	global_load_dword v2, v[2:3], off
	s_waitcnt vmcnt(0)
	v_alignbit_b32 v1, v2, v1, 30
	v_and_b32_e32 v35, 7, v1
.LBB13_775:
	s_load_dword s4, s[4:5], 0x7c
	s_waitcnt lgkmcnt(0)
	s_ashr_i32 s5, s4, 31
	s_lshr_b32 s5, s5, 27
	s_add_i32 s5, s4, s5
	s_and_b32 s6, s5, 0xffffffe0
	s_sub_i32 s4, s4, s6
	s_ashr_i32 s6, s5, 5
	s_cmp_lt_i32 s4, 21
	s_mul_i32 s6, s6, 3
	s_cbranch_scc1 .LBB13_779
; %bb.776:
	s_cmp_eq_u32 s4, 21
	s_cbranch_scc0 .LBB13_780
; %bb.777:
	s_add_i32 s8, s6, 1
	s_mov_b32 s5, 0
	s_branch .LBB13_781
.LBB13_778:
	v_mov_b32_e32 v2, 0
	s_waitcnt vmcnt(0)
	v_lshrrev_b64 v[2:3], s9, v[1:2]
	v_and_b32_e32 v35, 7, v2
	s_cbranch_execz .LBB13_774
	s_branch .LBB13_775
.LBB13_779:
	s_mov_b32 s5, 0
                                        ; implicit-def: $sgpr8
	s_cbranch_execnz .LBB13_782
	s_branch .LBB13_783
.LBB13_780:
	s_mov_b32 s5, -1
                                        ; implicit-def: $sgpr8
.LBB13_781:
	s_branch .LBB13_783
.LBB13_782:
	s_cmp_lg_u32 s4, 10
	s_mov_b32 s8, s6
	s_cselect_b32 s5, -1, 0
.LBB13_783:
	s_andn2_b32 vcc_lo, exec_lo, s5
	s_mov_b32 s5, 26
	s_cbranch_vccnz .LBB13_790
; %bb.784:
	s_cmp_gt_i32 s4, 21
	s_mul_i32 s9, s4, 3
	s_cbranch_scc1 .LBB13_788
; %bb.785:
	s_cmp_lt_i32 s4, 11
	s_mov_b32 s5, s9
	s_mov_b32 s8, s6
	s_cbranch_scc1 .LBB13_787
; %bb.786:
	s_sub_i32 s5, s9, 32
	s_add_i32 s8, s6, 1
.LBB13_787:
	s_cbranch_execz .LBB13_789
	s_branch .LBB13_790
.LBB13_788:
                                        ; implicit-def: $sgpr5
                                        ; implicit-def: $sgpr8
.LBB13_789:
	s_sub_i32 s5, s9, 64
	s_add_i32 s8, s6, 2
.LBB13_790:
	s_waitcnt vmcnt(0)
	v_mad_u64_u32 v[3:4], null, s8, s10, v[0:1]
	v_mov_b32_e32 v4, 0
	s_cmp_lt_i32 s4, 21
	s_mov_b32 s6, 0
	v_lshlrev_b64 v[1:2], 2, v[3:4]
	v_add_co_u32 v1, vcc_lo, s0, v1
	v_add_co_ci_u32_e64 v2, null, s1, v2, vcc_lo
	global_load_dword v1, v[1:2], off
	s_cbranch_scc1 .LBB13_793
; %bb.791:
	s_cmp_eq_u32 s4, 21
	s_cbranch_scc0 .LBB13_794
; %bb.792:
	v_add_nc_u32_e32 v36, s10, v3
	v_mov_b32_e32 v37, 0
	s_mov_b32 s8, 0
	v_lshlrev_b64 v[36:37], 2, v[36:37]
	v_add_co_u32 v36, vcc_lo, s0, v36
	v_add_co_ci_u32_e64 v37, null, s1, v37, vcc_lo
	global_load_dword v2, v[36:37], off
	s_waitcnt vmcnt(0)
	v_alignbit_b32 v2, v2, v1, 31
	v_and_b32_e32 v2, 7, v2
	s_branch .LBB13_795
.LBB13_793:
	s_mov_b32 s8, 0
                                        ; implicit-def: $vgpr2
	s_cbranch_execnz .LBB13_796
	s_branch .LBB13_797
.LBB13_794:
	s_mov_b32 s8, -1
                                        ; implicit-def: $vgpr2
.LBB13_795:
	s_branch .LBB13_797
.LBB13_796:
	s_cmp_lg_u32 s4, 10
	s_mov_b32 s6, -1
	s_cselect_b32 s8, -1, 0
.LBB13_797:
	s_andn2_b32 vcc_lo, exec_lo, s8
	s_cbranch_vccz .LBB13_802
; %bb.798:
	s_andn2_b32 vcc_lo, exec_lo, s6
	s_cbranch_vccnz .LBB13_800
.LBB13_799:
	v_add_nc_u32_e32 v2, s10, v3
	v_mov_b32_e32 v3, 0
	v_lshlrev_b64 v[2:3], 2, v[2:3]
	v_add_co_u32 v2, vcc_lo, s0, v2
	v_add_co_ci_u32_e64 v3, null, s1, v3, vcc_lo
	global_load_dword v2, v[2:3], off
	s_waitcnt vmcnt(0)
	v_alignbit_b32 v1, v2, v1, 30
	v_and_b32_e32 v2, 7, v1
.LBB13_800:
	s_waitcnt vmcnt(0)
	v_lshrrev_b32_e32 v1, 1, v26
	v_lshlrev_b32_e32 v3, 2, v27
	v_lshlrev_b32_e32 v4, 5, v28
	;; [unrolled: 1-line block ×3, first 2 shown]
	v_lshrrev_b32_e32 v29, 2, v15
	v_lshlrev_b32_e32 v28, 11, v30
	v_lshlrev_b32_e32 v6, 3, v6
	v_or3_b32 v1, v1, v3, v4
	v_lshlrev_b32_e32 v3, 4, v17
	v_lshlrev_b32_e32 v4, 7, v18
	v_lshl_or_b32 v16, v16, 1, v29
	v_lshlrev_b32_e32 v7, 6, v7
	v_or3_b32 v1, v1, v27, v28
	v_lshlrev_b32_e32 v17, 14, v31
	v_lshlrev_b32_e32 v18, 17, v32
	v_or3_b32 v3, v16, v3, v4
	v_lshlrev_b32_e32 v4, 10, v19
	;; [unrolled: 3-line block ×3, first 2 shown]
	v_lshlrev_b32_e32 v7, 12, v9
	v_or3_b32 v1, v1, v17, v18
	v_or3_b32 v3, v3, v4, v16
	v_lshlrev_b32_e32 v4, 16, v21
	v_lshlrev_b32_e32 v16, 19, v22
	;; [unrolled: 1-line block ×5, first 2 shown]
	v_or3_b32 v5, v5, v6, v7
	v_or3_b32 v3, v3, v4, v16
	v_lshlrev_b32_e32 v4, 22, v23
	v_lshlrev_b32_e32 v6, 15, v10
	;; [unrolled: 1-line block ×3, first 2 shown]
	s_mul_i32 s7, s7, s10
	v_or3_b32 v8, v1, v17, v8
	v_mad_u64_u32 v[0:1], null, s7, 3, v[0:1]
	v_or3_b32 v4, v3, v4, v9
	v_or3_b32 v3, v5, v6, v7
	v_lshlrev_b32_e32 v5, 21, v12
	v_lshlrev_b32_e32 v6, 24, v13
	v_mov_b32_e32 v1, 0
	v_lshlrev_b32_e32 v7, 28, v25
	v_lshlrev_b32_e32 v9, 31, v26
	;; [unrolled: 1-line block ×3, first 2 shown]
	v_or3_b32 v5, v3, v5, v6
	v_lshlrev_b32_e32 v6, 27, v14
	v_lshlrev_b32_e32 v12, 29, v2
	v_lshlrev_b64 v[2:3], 2, v[0:1]
	v_add_nc_u32_e32 v0, s10, v0
	v_or3_b32 v7, v4, v7, v9
	v_or3_b32 v6, v5, v6, v11
	v_lshlrev_b32_e32 v10, 26, v35
	v_lshlrev_b64 v[4:5], 2, v[0:1]
	v_add_nc_u32_e32 v0, s10, v0
	v_add_co_u32 v2, vcc_lo, s2, v2
	v_add_co_ci_u32_e64 v3, null, s3, v3, vcc_lo
	v_lshlrev_b64 v[0:1], 2, v[0:1]
	v_add_co_u32 v4, vcc_lo, s2, v4
	v_add_co_ci_u32_e64 v5, null, s3, v5, vcc_lo
	v_or3_b32 v8, v8, v10, v12
	v_add_co_u32 v0, vcc_lo, s2, v0
	v_add_co_ci_u32_e64 v1, null, s3, v1, vcc_lo
	global_store_dword v[2:3], v6, off
	global_store_dword v[4:5], v7, off
	;; [unrolled: 1-line block ×3, first 2 shown]
.LBB13_801:
	s_endpgm
.LBB13_802:
	v_mov_b32_e32 v2, 0
	s_waitcnt vmcnt(0)
	v_lshrrev_b64 v[36:37], s5, v[1:2]
	v_and_b32_e32 v2, 7, v36
	s_cbranch_execz .LBB13_799
	s_branch .LBB13_800
	.section	.rodata,"a",@progbits
	.p2align	6, 0x0
	.amdhsa_kernel _ZN4vllm4gptq27make_sequential_3bit_kernelEPKjPjPKii
		.amdhsa_group_segment_fixed_size 0
		.amdhsa_private_segment_fixed_size 0
		.amdhsa_kernarg_size 28
		.amdhsa_user_sgpr_count 6
		.amdhsa_user_sgpr_private_segment_buffer 1
		.amdhsa_user_sgpr_dispatch_ptr 0
		.amdhsa_user_sgpr_queue_ptr 0
		.amdhsa_user_sgpr_kernarg_segment_ptr 1
		.amdhsa_user_sgpr_dispatch_id 0
		.amdhsa_user_sgpr_flat_scratch_init 0
		.amdhsa_user_sgpr_private_segment_size 0
		.amdhsa_wavefront_size32 1
		.amdhsa_uses_dynamic_stack 0
		.amdhsa_system_sgpr_private_segment_wavefront_offset 0
		.amdhsa_system_sgpr_workgroup_id_x 1
		.amdhsa_system_sgpr_workgroup_id_y 1
		.amdhsa_system_sgpr_workgroup_id_z 0
		.amdhsa_system_sgpr_workgroup_info 0
		.amdhsa_system_vgpr_workitem_id 0
		.amdhsa_next_free_vgpr 38
		.amdhsa_next_free_sgpr 14
		.amdhsa_reserve_vcc 1
		.amdhsa_reserve_flat_scratch 0
		.amdhsa_float_round_mode_32 0
		.amdhsa_float_round_mode_16_64 0
		.amdhsa_float_denorm_mode_32 3
		.amdhsa_float_denorm_mode_16_64 3
		.amdhsa_dx10_clamp 1
		.amdhsa_ieee_mode 1
		.amdhsa_fp16_overflow 0
		.amdhsa_workgroup_processor_mode 1
		.amdhsa_memory_ordered 1
		.amdhsa_forward_progress 1
		.amdhsa_shared_vgpr_count 0
		.amdhsa_exception_fp_ieee_invalid_op 0
		.amdhsa_exception_fp_denorm_src 0
		.amdhsa_exception_fp_ieee_div_zero 0
		.amdhsa_exception_fp_ieee_overflow 0
		.amdhsa_exception_fp_ieee_underflow 0
		.amdhsa_exception_fp_ieee_inexact 0
		.amdhsa_exception_int_div_zero 0
	.end_amdhsa_kernel
	.text
.Lfunc_end13:
	.size	_ZN4vllm4gptq27make_sequential_3bit_kernelEPKjPjPKii, .Lfunc_end13-_ZN4vllm4gptq27make_sequential_3bit_kernelEPKjPjPKii
                                        ; -- End function
	.set _ZN4vllm4gptq27make_sequential_3bit_kernelEPKjPjPKii.num_vgpr, 38
	.set _ZN4vllm4gptq27make_sequential_3bit_kernelEPKjPjPKii.num_agpr, 0
	.set _ZN4vllm4gptq27make_sequential_3bit_kernelEPKjPjPKii.numbered_sgpr, 14
	.set _ZN4vllm4gptq27make_sequential_3bit_kernelEPKjPjPKii.num_named_barrier, 0
	.set _ZN4vllm4gptq27make_sequential_3bit_kernelEPKjPjPKii.private_seg_size, 0
	.set _ZN4vllm4gptq27make_sequential_3bit_kernelEPKjPjPKii.uses_vcc, 1
	.set _ZN4vllm4gptq27make_sequential_3bit_kernelEPKjPjPKii.uses_flat_scratch, 0
	.set _ZN4vllm4gptq27make_sequential_3bit_kernelEPKjPjPKii.has_dyn_sized_stack, 0
	.set _ZN4vllm4gptq27make_sequential_3bit_kernelEPKjPjPKii.has_recursion, 0
	.set _ZN4vllm4gptq27make_sequential_3bit_kernelEPKjPjPKii.has_indirect_call, 0
	.section	.AMDGPU.csdata,"",@progbits
; Kernel info:
; codeLenInByte = 15016
; TotalNumSgprs: 16
; NumVgprs: 38
; ScratchSize: 0
; MemoryBound: 0
; FloatMode: 240
; IeeeMode: 1
; LDSByteSize: 0 bytes/workgroup (compile time only)
; SGPRBlocks: 0
; VGPRBlocks: 4
; NumSGPRsForWavesPerEU: 16
; NumVGPRsForWavesPerEU: 38
; Occupancy: 16
; WaveLimiterHint : 0
; COMPUTE_PGM_RSRC2:SCRATCH_EN: 0
; COMPUTE_PGM_RSRC2:USER_SGPR: 6
; COMPUTE_PGM_RSRC2:TRAP_HANDLER: 0
; COMPUTE_PGM_RSRC2:TGID_X_EN: 1
; COMPUTE_PGM_RSRC2:TGID_Y_EN: 1
; COMPUTE_PGM_RSRC2:TGID_Z_EN: 0
; COMPUTE_PGM_RSRC2:TIDIG_COMP_CNT: 0
	.text
	.protected	_ZN4vllm4gptq27make_sequential_8bit_kernelEPKjPjPKii ; -- Begin function _ZN4vllm4gptq27make_sequential_8bit_kernelEPKjPjPKii
	.globl	_ZN4vllm4gptq27make_sequential_8bit_kernelEPKjPjPKii
	.p2align	8
	.type	_ZN4vllm4gptq27make_sequential_8bit_kernelEPKjPjPKii,@function
_ZN4vllm4gptq27make_sequential_8bit_kernelEPKjPjPKii: ; @_ZN4vllm4gptq27make_sequential_8bit_kernelEPKjPjPKii
; %bb.0:
	s_load_dword s0, s[4:5], 0x18
	v_lshl_add_u32 v0, s6, 5, v0
	s_waitcnt lgkmcnt(0)
	s_ashr_i32 s6, s0, 1
	s_mov_b32 s0, exec_lo
	v_cmpx_gt_u32_e64 s6, v0
	s_cbranch_execz .LBB14_2
; %bb.1:
	s_load_dwordx2 s[0:1], s[4:5], 0x10
	s_lshl_b32 s2, s7, 2
	s_ashr_i32 s3, s2, 31
	s_lshl_b64 s[2:3], s[2:3], 2
	s_waitcnt lgkmcnt(0)
	s_add_u32 s0, s0, s2
	s_addc_u32 s1, s1, s3
	s_load_dwordx4 s[8:11], s[0:1], 0x0
	s_load_dwordx4 s[0:3], s[4:5], 0x0
	s_waitcnt lgkmcnt(0)
	s_ashr_i32 s4, s8, 2
	s_ashr_i32 s5, s9, 2
	v_mad_u64_u32 v[1:2], null, s4, s6, v[0:1]
	v_mov_b32_e32 v2, 0
	s_ashr_i32 s12, s10, 2
	s_ashr_i32 s13, s11, 2
	s_lshl_b32 s4, s11, 3
	s_and_b32 s4, s4, 24
	v_mad_u64_u32 v[3:4], null, s5, s6, v[0:1]
	v_mad_u64_u32 v[5:6], null, s12, s6, v[0:1]
	v_mov_b32_e32 v4, v2
	v_mad_u64_u32 v[7:8], null, s13, s6, v[0:1]
	v_mov_b32_e32 v6, v2
	v_mov_b32_e32 v8, v2
	v_lshlrev_b64 v[3:4], 3, v[3:4]
	v_lshlrev_b64 v[9:10], 3, v[1:2]
	v_mad_u64_u32 v[0:1], null, s6, s7, v[0:1]
	v_lshlrev_b64 v[5:6], 3, v[5:6]
	v_lshlrev_b64 v[7:8], 3, v[7:8]
	v_add_co_u32 v3, vcc_lo, s0, v3
	v_add_co_ci_u32_e64 v4, null, s1, v4, vcc_lo
	v_add_co_u32 v5, vcc_lo, s0, v5
	v_add_co_ci_u32_e64 v6, null, s1, v6, vcc_lo
	;; [unrolled: 2-line block ×3, first 2 shown]
	s_clause 0x2
	global_load_dwordx2 v[3:4], v[3:4], off
	global_load_dwordx2 v[5:6], v[5:6], off
	;; [unrolled: 1-line block ×3, first 2 shown]
	v_add_co_u32 v9, vcc_lo, s0, v9
	v_add_co_ci_u32_e64 v10, null, s1, v10, vcc_lo
	s_lshl_b32 s0, s9, 3
	s_lshl_b32 s1, s10, 3
	s_and_b32 s0, s0, 24
	global_load_dwordx2 v[9:10], v[9:10], off
	s_and_b32 s1, s1, 24
	v_mov_b32_e32 v1, v2
	v_lshlrev_b64 v[0:1], 3, v[0:1]
	v_add_co_u32 v0, vcc_lo, s2, v0
	v_add_co_ci_u32_e64 v1, null, s3, v1, vcc_lo
	s_waitcnt vmcnt(3)
	v_lshrrev_b64 v[3:4], s0, v[3:4]
	s_waitcnt vmcnt(2)
	v_lshrrev_b64 v[5:6], s1, v[5:6]
	;; [unrolled: 2-line block ×3, first 2 shown]
	s_lshl_b32 s0, s8, 3
	s_and_b32 s0, s0, 24
	v_lshlrev_b64 v[3:4], 8, v[3:4]
	v_lshlrev_b64 v[5:6], 16, v[5:6]
	;; [unrolled: 1-line block ×3, first 2 shown]
	s_waitcnt vmcnt(0)
	v_lshrrev_b64 v[9:10], s0, v[9:10]
	v_and_b32_e32 v2, 0xff00, v4
	v_and_b32_e32 v3, 0xff00, v3
	;; [unrolled: 1-line block ×5, first 2 shown]
	v_or_b32_sdwa v2, v2, v10 dst_sel:DWORD dst_unused:UNUSED_PAD src0_sel:DWORD src1_sel:BYTE_0
	v_or_b32_sdwa v8, v3, v9 dst_sel:DWORD dst_unused:UNUSED_PAD src0_sel:DWORD src1_sel:BYTE_0
	v_or3_b32 v3, v4, v2, v6
	v_or3_b32 v2, v5, v8, v7
	global_store_dwordx2 v[0:1], v[2:3], off
.LBB14_2:
	s_endpgm
	.section	.rodata,"a",@progbits
	.p2align	6, 0x0
	.amdhsa_kernel _ZN4vllm4gptq27make_sequential_8bit_kernelEPKjPjPKii
		.amdhsa_group_segment_fixed_size 0
		.amdhsa_private_segment_fixed_size 0
		.amdhsa_kernarg_size 28
		.amdhsa_user_sgpr_count 6
		.amdhsa_user_sgpr_private_segment_buffer 1
		.amdhsa_user_sgpr_dispatch_ptr 0
		.amdhsa_user_sgpr_queue_ptr 0
		.amdhsa_user_sgpr_kernarg_segment_ptr 1
		.amdhsa_user_sgpr_dispatch_id 0
		.amdhsa_user_sgpr_flat_scratch_init 0
		.amdhsa_user_sgpr_private_segment_size 0
		.amdhsa_wavefront_size32 1
		.amdhsa_uses_dynamic_stack 0
		.amdhsa_system_sgpr_private_segment_wavefront_offset 0
		.amdhsa_system_sgpr_workgroup_id_x 1
		.amdhsa_system_sgpr_workgroup_id_y 1
		.amdhsa_system_sgpr_workgroup_id_z 0
		.amdhsa_system_sgpr_workgroup_info 0
		.amdhsa_system_vgpr_workitem_id 0
		.amdhsa_next_free_vgpr 11
		.amdhsa_next_free_sgpr 14
		.amdhsa_reserve_vcc 1
		.amdhsa_reserve_flat_scratch 0
		.amdhsa_float_round_mode_32 0
		.amdhsa_float_round_mode_16_64 0
		.amdhsa_float_denorm_mode_32 3
		.amdhsa_float_denorm_mode_16_64 3
		.amdhsa_dx10_clamp 1
		.amdhsa_ieee_mode 1
		.amdhsa_fp16_overflow 0
		.amdhsa_workgroup_processor_mode 1
		.amdhsa_memory_ordered 1
		.amdhsa_forward_progress 1
		.amdhsa_shared_vgpr_count 0
		.amdhsa_exception_fp_ieee_invalid_op 0
		.amdhsa_exception_fp_denorm_src 0
		.amdhsa_exception_fp_ieee_div_zero 0
		.amdhsa_exception_fp_ieee_overflow 0
		.amdhsa_exception_fp_ieee_underflow 0
		.amdhsa_exception_fp_ieee_inexact 0
		.amdhsa_exception_int_div_zero 0
	.end_amdhsa_kernel
	.text
.Lfunc_end14:
	.size	_ZN4vllm4gptq27make_sequential_8bit_kernelEPKjPjPKii, .Lfunc_end14-_ZN4vllm4gptq27make_sequential_8bit_kernelEPKjPjPKii
                                        ; -- End function
	.set _ZN4vllm4gptq27make_sequential_8bit_kernelEPKjPjPKii.num_vgpr, 11
	.set _ZN4vllm4gptq27make_sequential_8bit_kernelEPKjPjPKii.num_agpr, 0
	.set _ZN4vllm4gptq27make_sequential_8bit_kernelEPKjPjPKii.numbered_sgpr, 14
	.set _ZN4vllm4gptq27make_sequential_8bit_kernelEPKjPjPKii.num_named_barrier, 0
	.set _ZN4vllm4gptq27make_sequential_8bit_kernelEPKjPjPKii.private_seg_size, 0
	.set _ZN4vllm4gptq27make_sequential_8bit_kernelEPKjPjPKii.uses_vcc, 1
	.set _ZN4vllm4gptq27make_sequential_8bit_kernelEPKjPjPKii.uses_flat_scratch, 0
	.set _ZN4vllm4gptq27make_sequential_8bit_kernelEPKjPjPKii.has_dyn_sized_stack, 0
	.set _ZN4vllm4gptq27make_sequential_8bit_kernelEPKjPjPKii.has_recursion, 0
	.set _ZN4vllm4gptq27make_sequential_8bit_kernelEPKjPjPKii.has_indirect_call, 0
	.section	.AMDGPU.csdata,"",@progbits
; Kernel info:
; codeLenInByte = 512
; TotalNumSgprs: 16
; NumVgprs: 11
; ScratchSize: 0
; MemoryBound: 0
; FloatMode: 240
; IeeeMode: 1
; LDSByteSize: 0 bytes/workgroup (compile time only)
; SGPRBlocks: 0
; VGPRBlocks: 1
; NumSGPRsForWavesPerEU: 16
; NumVGPRsForWavesPerEU: 11
; Occupancy: 16
; WaveLimiterHint : 1
; COMPUTE_PGM_RSRC2:SCRATCH_EN: 0
; COMPUTE_PGM_RSRC2:USER_SGPR: 6
; COMPUTE_PGM_RSRC2:TRAP_HANDLER: 0
; COMPUTE_PGM_RSRC2:TGID_X_EN: 1
; COMPUTE_PGM_RSRC2:TGID_Y_EN: 1
; COMPUTE_PGM_RSRC2:TGID_Z_EN: 0
; COMPUTE_PGM_RSRC2:TIDIG_COMP_CNT: 0
	.section	.text._ZN4vllm4gptq33gemm_half_q_half_gptq_2bit_kernelILb1ELi1EEEvPK6__halfPKjS6_S4_PS2_iiiibPKi,"axG",@progbits,_ZN4vllm4gptq33gemm_half_q_half_gptq_2bit_kernelILb1ELi1EEEvPK6__halfPKjS6_S4_PS2_iiiibPKi,comdat
	.protected	_ZN4vllm4gptq33gemm_half_q_half_gptq_2bit_kernelILb1ELi1EEEvPK6__halfPKjS6_S4_PS2_iiiibPKi ; -- Begin function _ZN4vllm4gptq33gemm_half_q_half_gptq_2bit_kernelILb1ELi1EEEvPK6__halfPKjS6_S4_PS2_iiiibPKi
	.globl	_ZN4vllm4gptq33gemm_half_q_half_gptq_2bit_kernelILb1ELi1EEEvPK6__halfPKjS6_S4_PS2_iiiibPKi
	.p2align	8
	.type	_ZN4vllm4gptq33gemm_half_q_half_gptq_2bit_kernelILb1ELi1EEEvPK6__halfPKjS6_S4_PS2_iiiibPKi,@function
_ZN4vllm4gptq33gemm_half_q_half_gptq_2bit_kernelILb1ELi1EEEvPK6__halfPKjS6_S4_PS2_iiiibPKi: ; @_ZN4vllm4gptq33gemm_half_q_half_gptq_2bit_kernelILb1ELi1EEEvPK6__halfPKjS6_S4_PS2_iiiibPKi
; %bb.0:
	s_load_dwordx4 s[0:3], s[4:5], 0x2c
	s_lshl_b32 s18, s8, 7
	s_mov_b32 s20, exec_lo
	s_add_i32 s8, s18, 0x80
	v_cvt_f64_u32_e32 v[1:2], s8
	s_load_dwordx8 s[8:15], s[4:5], 0x8
	s_waitcnt lgkmcnt(0)
	v_cvt_f64_i32_e32 v[3:4], s1
	v_min_f64 v[1:2], v[1:2], v[3:4]
	v_cvt_i32_f64_e32 v2, v[1:2]
	v_add_nc_u32_e32 v1, s18, v0
	v_readfirstlane_b32 s19, v2
	v_cmpx_lt_u32_e64 v1, v2
	s_cbranch_execz .LBB15_4
; %bb.1:
	s_clause 0x1
	s_load_dwordx2 s[16:17], s[4:5], 0x40
	s_load_dwordx2 s[4:5], s[4:5], 0x0
	v_mov_b32_e32 v2, 0
	s_waitcnt lgkmcnt(0)
	s_cmp_eq_u64 s[16:17], 0
	s_cbranch_scc1 .LBB15_3
; %bb.2:
	v_lshlrev_b64 v[1:2], 2, v[1:2]
	v_add_co_u32 v1, vcc_lo, s16, v1
	v_add_co_ci_u32_e64 v2, null, s17, v2, vcc_lo
	global_load_dword v1, v[1:2], off
	s_waitcnt vmcnt(0)
	v_ashrrev_i32_e32 v2, 31, v1
.LBB15_3:
	s_mul_i32 s16, s1, s7
	v_lshlrev_b64 v[1:2], 1, v[1:2]
	s_ashr_i32 s17, s16, 31
	s_lshl_b64 s[16:17], s[16:17], 1
	s_add_u32 s4, s4, s16
	s_addc_u32 s5, s5, s17
	v_add_co_u32 v1, vcc_lo, s4, v1
	v_add_co_ci_u32_e64 v2, null, s5, v2, vcc_lo
	global_load_ushort v1, v[1:2], off
	v_lshlrev_b32_e32 v2, 1, v0
	s_waitcnt vmcnt(0)
	ds_write_b16 v2, v1
.LBB15_4:
	s_or_b32 exec_lo, exec_lo, s20
	v_lshlrev_b32_e32 v1, 2, v0
	s_mov_b32 s4, exec_lo
	v_lshl_add_u32 v1, s6, 9, v1
	v_cmpx_gt_i32_e64 s0, v1
	s_cbranch_execz .LBB15_16
; %bb.5:
	s_abs_i32 s5, s2
	s_cmp_ge_i32 s18, s19
	v_cvt_f32_u32_e32 v2, s5
	s_mov_b32 s4, 0
	s_waitcnt lgkmcnt(0)
	s_barrier
	buffer_gl0_inv
	v_rcp_iflag_f32_e32 v2, v2
	v_mul_f32_e32 v2, 0x4f7ffffe, v2
	v_cvt_u32_f32_e32 v2, v2
	v_readfirstlane_b32 s6, v2
	s_cbranch_scc1 .LBB15_10
; %bb.6:
	s_sub_i32 s16, 0, s5
	s_abs_i32 s17, s1
	s_mul_i32 s16, s16, s6
	s_ashr_i32 s1, s1, 31
	s_mul_hi_u32 s16, s6, s16
	s_ashr_i32 s2, s2, 31
	s_add_i32 s6, s6, s16
	s_xor_b32 s1, s1, s2
	s_mul_hi_u32 s6, s17, s6
	v_lshlrev_b32_e32 v12, 3, v0
	s_mul_i32 s16, s6, s5
	v_mov_b32_e32 v7, 0
	s_sub_i32 s2, s17, s16
	s_add_i32 s16, s6, 1
	s_sub_i32 s17, s2, s5
	s_cmp_ge_u32 s2, s5
	v_and_b32_e32 v10, 24, v12
	s_cselect_b32 s6, s16, s6
	s_cselect_b32 s2, s17, s2
	s_add_i32 s16, s6, 1
	s_cmp_ge_u32 s2, s5
	v_mov_b32_e32 v0, 0
	s_cselect_b32 s2, s16, s6
	v_mov_b32_e32 v9, 0x10001
	s_xor_b32 s2, s2, s1
	s_mov_b32 s16, 0x10001
	s_sub_i32 s5, s2, s1
	s_bitcmp1_b32 s3, 0
	v_cvt_f32_u32_e32 v2, s5
	s_cselect_b32 s2, -1, 0
	s_sub_i32 s3, 0, s5
	s_xor_b32 s20, s2, -1
	s_mov_b32 s17, 0x30003
	v_rcp_iflag_f32_e32 v2, v2
	v_mul_f32_e32 v2, 0x4f7ffffe, v2
	v_cvt_u32_f32_e32 v2, v2
	v_readfirstlane_b32 s1, v2
	v_ashrrev_i32_e32 v2, 31, v1
	s_mul_i32 s3, s3, s1
	v_lshrrev_b32_e32 v3, 28, v2
	s_mul_hi_u32 s3, s1, s3
	s_add_i32 s1, s1, s3
	v_add_nc_u32_e32 v3, v1, v3
	s_mul_hi_u32 s1, s18, s1
	s_mul_i32 s3, s1, s5
	s_sub_i32 s2, s18, s3
	s_add_i32 s3, s1, 1
	s_sub_i32 s6, s2, s5
	s_cmp_ge_u32 s2, s5
	v_ashrrev_i32_e32 v8, 4, v3
	s_cselect_b32 s1, s3, s1
	s_cselect_b32 s2, s6, s2
	s_add_i32 s3, s1, 1
	s_cmp_ge_u32 s2, s5
	s_cselect_b32 s6, s3, s1
	s_mul_i32 s1, s6, s0
	s_ashr_i32 s2, s1, 31
	v_add_nc_u32_e32 v5, s1, v1
	s_lshr_b32 s2, s2, 28
	s_add_i32 s2, s1, s2
	s_lshr_b32 s1, s18, 4
	s_ashr_i32 s2, s2, 4
	v_ashrrev_i32_e32 v6, 31, v5
	v_add_nc_u32_e32 v3, s2, v8
	s_mul_i32 s2, s0, s1
	s_ashr_i32 s1, s0, 31
	s_ashr_i32 s3, s2, 31
	v_ashrrev_i32_e32 v4, 31, v3
	s_lshl_b64 s[2:3], s[2:3], 2
	v_lshlrev_b64 v[3:4], 2, v[3:4]
	v_add_co_u32 v3, vcc_lo, s10, v3
	v_add_co_ci_u32_e64 v4, null, s11, v4, vcc_lo
	global_load_dword v11, v[3:4], off
	v_lshlrev_b64 v[3:4], 1, v[5:6]
	v_lshlrev_b64 v[5:6], 2, v[1:2]
	v_cndmask_b32_e64 v2, 0, 1, s20
	s_add_i32 s20, s5, s18
	s_add_u32 s8, s8, s2
	s_addc_u32 s9, s9, s3
	v_add_co_u32 v3, vcc_lo, s12, v3
	v_add_co_ci_u32_e64 v4, null, s13, v4, vcc_lo
	v_add_co_u32 v5, vcc_lo, s8, v5
	v_add_co_ci_u32_e64 v6, null, s9, v6, vcc_lo
	global_load_dwordx2 v[3:4], v[3:4], off
	v_add_co_u32 v5, vcc_lo, v5, 8
	v_add_co_ci_u32_e64 v6, null, 0, v6, vcc_lo
	s_lshl_b64 s[2:3], s[0:1], 2
	s_mov_b32 s1, 0xc000c
	s_mov_b32 s8, 0x300030
	;; [unrolled: 1-line block ×3, first 2 shown]
	s_waitcnt vmcnt(1)
	v_lshrrev_b32_e32 v15, v12, v11
	v_bfe_u32 v12, v11, v10, 2
	v_mov_b32_e32 v11, 0
	v_bfe_u32 v13, v15, 2, 2
	v_bfe_u32 v14, v15, 4, 2
	;; [unrolled: 1-line block ×3, first 2 shown]
	s_branch .LBB15_8
.LBB15_7:                               ;   in Loop: Header=BB15_8 Depth=1
	global_load_dwordx4 v[16:19], v[5:6], off offset:-8
	v_add_nc_u32_e32 v20, v12, v2
	v_add_nc_u32_e32 v21, v13, v2
	;; [unrolled: 1-line block ×4, first 2 shown]
	v_mov_b32_e32 v26, s4
	v_cvt_f32_i32_e32 v28, v20
	v_cvt_f32_i32_e32 v30, v21
	v_and_b32_e32 v29, 0x1bff, v20
	v_and_b32_e32 v31, 0x1bff, v21
	v_cvt_f32_i32_e32 v32, v22
	v_and_b32_e32 v33, 0x1bff, v22
	v_cvt_f32_i32_e32 v34, v23
	v_and_b32_e32 v35, 0x1bff, v23
	ds_read2_b32 v[20:21], v26 offset1:1
	ds_read2_b32 v[22:23], v26 offset0:2 offset1:3
	ds_read2_b32 v[24:25], v26 offset0:4 offset1:5
	;; [unrolled: 1-line block ×3, first 2 shown]
	v_cvt_f16_f32_e32 v28, v28
	v_cvt_f16_f32_e32 v30, v30
	v_mad_u32_u24 v29, v29, s16, 0xe400e400
	v_mad_u32_u24 v31, v31, s16, 0xe400e400
	v_cvt_f16_f32_e32 v32, v32
	v_cvt_f16_f32_e32 v34, v34
	v_sub_f16_e32 v36, 0xdc00, v28
	v_sub_f16_e32 v38, 0xdc00, v30
	v_mad_u32_u24 v33, v33, s16, 0xe400e400
	v_mad_u32_u24 v35, v35, s16, 0xe400e400
	v_sub_f16_e32 v37, 0xd400, v28
	v_sub_f16_e32 v39, 0xd400, v30
	;; [unrolled: 1-line block ×4, first 2 shown]
	v_mul_u32_u24_sdwa v36, v36, v9 dst_sel:DWORD dst_unused:UNUSED_PAD src0_sel:WORD_0 src1_sel:DWORD
	v_mul_u32_u24_sdwa v38, v38, v9 dst_sel:DWORD dst_unused:UNUSED_PAD src0_sel:WORD_0 src1_sel:DWORD
	v_sub_f16_e32 v28, 0xcc00, v28
	v_sub_f16_e32 v30, 0xcc00, v30
	v_sub_f16_e32 v41, 0xd400, v32
	v_sub_f16_e32 v43, 0xd400, v34
	v_mul_u32_u24_sdwa v37, v37, v9 dst_sel:DWORD dst_unused:UNUSED_PAD src0_sel:WORD_0 src1_sel:DWORD
	v_mul_u32_u24_sdwa v39, v39, v9 dst_sel:DWORD dst_unused:UNUSED_PAD src0_sel:WORD_0 src1_sel:DWORD
	;; [unrolled: 1-line block ×4, first 2 shown]
	v_sub_f16_e32 v32, 0xcc00, v32
	v_sub_f16_e32 v34, 0xcc00, v34
	v_mul_u32_u24_sdwa v28, v28, v9 dst_sel:DWORD dst_unused:UNUSED_PAD src0_sel:WORD_0 src1_sel:DWORD
	v_mul_u32_u24_sdwa v30, v30, v9 dst_sel:DWORD dst_unused:UNUSED_PAD src0_sel:WORD_0 src1_sel:DWORD
	;; [unrolled: 1-line block ×6, first 2 shown]
	v_add_co_u32 v5, vcc_lo, v5, s2
	v_add_co_ci_u32_e64 v6, null, s3, v6, vcc_lo
	s_add_i32 s18, s18, 16
	s_add_i32 s4, s4, 32
	s_cmp_ge_i32 s18, s19
	s_waitcnt vmcnt(0)
	v_and_or_b32 v44, v16, s17, 0x64006400
	v_and_or_b32 v48, v17, s17, 0x64006400
	;; [unrolled: 1-line block ×5, first 2 shown]
	v_lshrrev_b32_e32 v16, 8, v16
	v_and_or_b32 v49, v17, s1, 0x64006400
	v_and_or_b32 v52, v18, s17, 0x64006400
	;; [unrolled: 1-line block ×3, first 2 shown]
	v_pk_add_f16 v44, v29, v44
	v_pk_add_f16 v48, v31, v48
	v_and_or_b32 v50, v17, s8, 0x64006400
	v_and_or_b32 v51, v17, s9, 0x64006400
	v_lshrrev_b32_e32 v17, 8, v17
	v_and_or_b32 v53, v18, s1, 0x64006400
	v_and_or_b32 v57, v19, s1, 0x64006400
	;; [unrolled: 1-line block ×4, first 2 shown]
	v_pk_fma_f16 v45, 0x3400, v45, v36 op_sel_hi:[0,1,1]
	v_pk_fma_f16 v49, 0x3400, v49, v38 op_sel_hi:[0,1,1]
	v_pk_add_f16 v52, v33, v52
	v_pk_add_f16 v56, v35, v56
	s_waitcnt lgkmcnt(3)
	v_pk_fma_f16 v44, v44, v20, 0
	v_pk_fma_f16 v48, v48, v20, 0
	v_and_or_b32 v54, v18, s8, 0x64006400
	v_and_or_b32 v55, v18, s9, 0x64006400
	v_lshrrev_b32_e32 v18, 8, v18
	v_and_or_b32 v58, v19, s8, 0x64006400
	v_and_or_b32 v62, v16, s8, 0x64006400
	;; [unrolled: 1-line block ×3, first 2 shown]
	v_pk_fma_f16 v46, 0x2c00, v46, v37 op_sel_hi:[0,1,1]
	v_pk_add_f16 v29, v29, v60
	v_and_or_b32 v60, v17, s17, 0x64006400
	v_pk_fma_f16 v36, 0x3400, v61, v36 op_sel_hi:[0,1,1]
	v_and_or_b32 v61, v17, s1, 0x64006400
	v_pk_fma_f16 v50, 0x2c00, v50, v39 op_sel_hi:[0,1,1]
	v_pk_fma_f16 v53, 0x3400, v53, v40 op_sel_hi:[0,1,1]
	;; [unrolled: 1-line block ×3, first 2 shown]
	v_pk_fma_f16 v52, v52, v20, 0
	v_pk_fma_f16 v20, v56, v20, 0
	;; [unrolled: 1-line block ×4, first 2 shown]
	v_and_or_b32 v59, v19, s9, 0x64006400
	v_lshrrev_b32_e32 v19, 8, v19
	v_pk_fma_f16 v47, 0x2400, v47, v28 op_sel_hi:[0,1,1]
	v_pk_fma_f16 v37, 0x2c00, v62, v37 op_sel_hi:[0,1,1]
	v_and_or_b32 v62, v17, s8, 0x64006400
	v_pk_fma_f16 v51, 0x2400, v51, v30 op_sel_hi:[0,1,1]
	v_pk_fma_f16 v16, 0x2400, v16, v28 op_sel_hi:[0,1,1]
	v_and_or_b32 v28, v18, s17, 0x64006400
	v_pk_add_f16 v31, v31, v60
	v_and_or_b32 v60, v18, s1, 0x64006400
	v_pk_fma_f16 v38, 0x3400, v61, v38 op_sel_hi:[0,1,1]
	v_and_or_b32 v61, v18, s8, 0x64006400
	v_and_or_b32 v18, v18, s9, 0x64006400
	v_pk_fma_f16 v54, 0x2c00, v54, v41 op_sel_hi:[0,1,1]
	v_pk_fma_f16 v58, 0x2c00, v58, v43 op_sel_hi:[0,1,1]
	v_pk_fma_f16 v48, v53, v21, v52
	v_pk_fma_f16 v20, v57, v21, v20
	s_waitcnt lgkmcnt(2)
	v_pk_fma_f16 v21, v46, v22, v44
	v_pk_fma_f16 v44, v50, v22, v45
	v_and_or_b32 v17, v17, s9, 0x64006400
	v_pk_fma_f16 v55, 0x2400, v55, v32 op_sel_hi:[0,1,1]
	v_pk_fma_f16 v39, 0x2c00, v62, v39 op_sel_hi:[0,1,1]
	v_and_or_b32 v62, v19, s17, 0x64006400
	v_pk_fma_f16 v59, 0x2400, v59, v34 op_sel_hi:[0,1,1]
	v_pk_fma_f16 v18, 0x2400, v18, v32 op_sel_hi:[0,1,1]
	v_pk_fma_f16 v32, v54, v22, v48
	v_pk_fma_f16 v20, v58, v22, v20
	;; [unrolled: 1-line block ×4, first 2 shown]
	v_pk_fma_f16 v17, 0x2400, v17, v30 op_sel_hi:[0,1,1]
	v_and_or_b32 v30, v19, s1, 0x64006400
	v_pk_add_f16 v28, v33, v28
	v_pk_add_f16 v35, v35, v62
	v_pk_fma_f16 v32, v55, v23, v32
	v_pk_fma_f16 v20, v59, v23, v20
	s_waitcnt lgkmcnt(1)
	v_pk_fma_f16 v21, v29, v24, v21
	v_pk_fma_f16 v22, v31, v24, v22
	v_and_or_b32 v33, v19, s8, 0x64006400
	v_pk_fma_f16 v40, 0x3400, v60, v40 op_sel_hi:[0,1,1]
	v_pk_fma_f16 v23, 0x3400, v30, v42 op_sel_hi:[0,1,1]
	v_pk_fma_f16 v28, v28, v24, v32
	v_pk_fma_f16 v20, v35, v24, v20
	;; [unrolled: 1-line block ×4, first 2 shown]
	v_and_or_b32 v19, v19, s9, 0x64006400
	v_pk_fma_f16 v41, 0x2c00, v61, v41 op_sel_hi:[0,1,1]
	v_pk_fma_f16 v24, 0x2c00, v33, v43 op_sel_hi:[0,1,1]
	v_pk_fma_f16 v28, v40, v25, v28
	v_pk_fma_f16 v20, v23, v25, v20
	s_waitcnt lgkmcnt(0)
	v_pk_fma_f16 v21, v37, v26, v21
	v_pk_fma_f16 v22, v39, v26, v22
	v_pk_fma_f16 v19, 0x2400, v19, v34 op_sel_hi:[0,1,1]
	v_pk_fma_f16 v23, v41, v26, v28
	v_pk_fma_f16 v20, v24, v26, v20
	;; [unrolled: 1-line block ×6, first 2 shown]
	v_pack_b32_f16 v20, v16, v17
	v_perm_b32 v16, v17, v16, 0x7060302
	v_lshrrev_b32_e32 v17, 16, v4
	v_add_f16_sdwa v18, v18, v18 dst_sel:DWORD dst_unused:UNUSED_PAD src0_sel:DWORD src1_sel:WORD_1
	v_add_f16_sdwa v19, v19, v19 dst_sel:DWORD dst_unused:UNUSED_PAD src0_sel:DWORD src1_sel:WORD_1
	v_pk_add_f16 v16, v20, v16
	v_fmac_f16_e32 v11, v18, v4
	v_fmac_f16_e32 v0, v19, v17
	v_pk_fma_f16 v7, v16, v3, v7
	s_cbranch_scc1 .LBB15_11
.LBB15_8:                               ; =>This Inner Loop Header: Depth=1
	s_cmp_lg_u32 s18, s20
	s_cbranch_scc1 .LBB15_7
; %bb.9:                                ;   in Loop: Header=BB15_8 Depth=1
	s_add_i32 s6, s6, 1
	s_add_i32 s20, s20, s5
	s_mul_i32 s21, s6, s0
	s_ashr_i32 s22, s21, 31
	v_add_nc_u32_e32 v12, s21, v1
	s_lshr_b32 s22, s22, 28
	s_add_i32 s22, s21, s22
	v_ashrrev_i32_e32 v13, 31, v12
	s_ashr_i32 s22, s22, 4
	s_waitcnt vmcnt(0)
	v_add_nc_u32_e32 v3, s22, v8
	v_lshlrev_b64 v[12:13], 1, v[12:13]
	v_ashrrev_i32_e32 v4, 31, v3
	v_lshlrev_b64 v[3:4], 2, v[3:4]
	v_add_co_u32 v3, vcc_lo, s10, v3
	v_add_co_ci_u32_e64 v4, null, s11, v4, vcc_lo
	global_load_dword v14, v[3:4], off
	v_add_co_u32 v3, vcc_lo, s12, v12
	v_add_co_ci_u32_e64 v4, null, s13, v13, vcc_lo
	global_load_dwordx2 v[3:4], v[3:4], off
	s_waitcnt vmcnt(1)
	v_lshrrev_b32_e32 v15, v10, v14
	v_bfe_u32 v12, v14, v10, 2
	v_bfe_u32 v13, v15, 2, 2
	;; [unrolled: 1-line block ×4, first 2 shown]
	s_branch .LBB15_7
.LBB15_10:
	v_mov_b32_e32 v4, 0
	v_mov_b32_e32 v7, 0
	;; [unrolled: 1-line block ×3, first 2 shown]
	s_branch .LBB15_12
.LBB15_11:
	v_and_b32_e32 v5, 0xffff, v11
	v_lshlrev_b32_e32 v4, 16, v0
.LBB15_12:
	v_mad_u64_u32 v[0:1], null, s0, s7, v[1:2]
	s_mov_b32 s0, 0
	v_ashrrev_i32_e32 v1, 31, v0
	v_lshlrev_b64 v[0:1], 1, v[0:1]
	v_add_co_u32 v0, vcc_lo, s14, v0
	v_add_co_ci_u32_e64 v1, null, s15, v1, vcc_lo
	global_load_dword v3, v[0:1], off
.LBB15_13:                              ; =>This Inner Loop Header: Depth=1
	s_waitcnt vmcnt(0)
	v_pk_add_f16 v2, v7, v3
	global_atomic_cmpswap v2, v[0:1], v[2:3], off glc
	s_waitcnt vmcnt(0)
	v_cmp_eq_u32_e32 vcc_lo, v3, v2
	v_mov_b32_e32 v3, v2
	s_or_b32 s0, vcc_lo, s0
	s_andn2_b32 exec_lo, exec_lo, s0
	s_cbranch_execnz .LBB15_13
; %bb.14:
	s_or_b32 exec_lo, exec_lo, s0
	global_load_dword v3, v[0:1], off offset:4
	v_or_b32_e32 v4, v4, v5
	s_mov_b32 s0, 0
.LBB15_15:                              ; =>This Inner Loop Header: Depth=1
	s_waitcnt vmcnt(0)
	v_pk_add_f16 v2, v4, v3
	global_atomic_cmpswap v2, v[0:1], v[2:3], off offset:4 glc
	s_waitcnt vmcnt(0)
	v_cmp_eq_u32_e32 vcc_lo, v3, v2
	v_mov_b32_e32 v3, v2
	s_or_b32 s0, vcc_lo, s0
	s_andn2_b32 exec_lo, exec_lo, s0
	s_cbranch_execnz .LBB15_15
.LBB15_16:
	s_endpgm
	.section	.rodata,"a",@progbits
	.p2align	6, 0x0
	.amdhsa_kernel _ZN4vllm4gptq33gemm_half_q_half_gptq_2bit_kernelILb1ELi1EEEvPK6__halfPKjS6_S4_PS2_iiiibPKi
		.amdhsa_group_segment_fixed_size 256
		.amdhsa_private_segment_fixed_size 0
		.amdhsa_kernarg_size 72
		.amdhsa_user_sgpr_count 6
		.amdhsa_user_sgpr_private_segment_buffer 1
		.amdhsa_user_sgpr_dispatch_ptr 0
		.amdhsa_user_sgpr_queue_ptr 0
		.amdhsa_user_sgpr_kernarg_segment_ptr 1
		.amdhsa_user_sgpr_dispatch_id 0
		.amdhsa_user_sgpr_flat_scratch_init 0
		.amdhsa_user_sgpr_private_segment_size 0
		.amdhsa_wavefront_size32 1
		.amdhsa_uses_dynamic_stack 0
		.amdhsa_system_sgpr_private_segment_wavefront_offset 0
		.amdhsa_system_sgpr_workgroup_id_x 1
		.amdhsa_system_sgpr_workgroup_id_y 1
		.amdhsa_system_sgpr_workgroup_id_z 1
		.amdhsa_system_sgpr_workgroup_info 0
		.amdhsa_system_vgpr_workitem_id 0
		.amdhsa_next_free_vgpr 63
		.amdhsa_next_free_sgpr 23
		.amdhsa_reserve_vcc 1
		.amdhsa_reserve_flat_scratch 0
		.amdhsa_float_round_mode_32 0
		.amdhsa_float_round_mode_16_64 0
		.amdhsa_float_denorm_mode_32 3
		.amdhsa_float_denorm_mode_16_64 3
		.amdhsa_dx10_clamp 1
		.amdhsa_ieee_mode 1
		.amdhsa_fp16_overflow 0
		.amdhsa_workgroup_processor_mode 1
		.amdhsa_memory_ordered 1
		.amdhsa_forward_progress 1
		.amdhsa_shared_vgpr_count 0
		.amdhsa_exception_fp_ieee_invalid_op 0
		.amdhsa_exception_fp_denorm_src 0
		.amdhsa_exception_fp_ieee_div_zero 0
		.amdhsa_exception_fp_ieee_overflow 0
		.amdhsa_exception_fp_ieee_underflow 0
		.amdhsa_exception_fp_ieee_inexact 0
		.amdhsa_exception_int_div_zero 0
	.end_amdhsa_kernel
	.section	.text._ZN4vllm4gptq33gemm_half_q_half_gptq_2bit_kernelILb1ELi1EEEvPK6__halfPKjS6_S4_PS2_iiiibPKi,"axG",@progbits,_ZN4vllm4gptq33gemm_half_q_half_gptq_2bit_kernelILb1ELi1EEEvPK6__halfPKjS6_S4_PS2_iiiibPKi,comdat
.Lfunc_end15:
	.size	_ZN4vllm4gptq33gemm_half_q_half_gptq_2bit_kernelILb1ELi1EEEvPK6__halfPKjS6_S4_PS2_iiiibPKi, .Lfunc_end15-_ZN4vllm4gptq33gemm_half_q_half_gptq_2bit_kernelILb1ELi1EEEvPK6__halfPKjS6_S4_PS2_iiiibPKi
                                        ; -- End function
	.set _ZN4vllm4gptq33gemm_half_q_half_gptq_2bit_kernelILb1ELi1EEEvPK6__halfPKjS6_S4_PS2_iiiibPKi.num_vgpr, 63
	.set _ZN4vllm4gptq33gemm_half_q_half_gptq_2bit_kernelILb1ELi1EEEvPK6__halfPKjS6_S4_PS2_iiiibPKi.num_agpr, 0
	.set _ZN4vllm4gptq33gemm_half_q_half_gptq_2bit_kernelILb1ELi1EEEvPK6__halfPKjS6_S4_PS2_iiiibPKi.numbered_sgpr, 23
	.set _ZN4vllm4gptq33gemm_half_q_half_gptq_2bit_kernelILb1ELi1EEEvPK6__halfPKjS6_S4_PS2_iiiibPKi.num_named_barrier, 0
	.set _ZN4vllm4gptq33gemm_half_q_half_gptq_2bit_kernelILb1ELi1EEEvPK6__halfPKjS6_S4_PS2_iiiibPKi.private_seg_size, 0
	.set _ZN4vllm4gptq33gemm_half_q_half_gptq_2bit_kernelILb1ELi1EEEvPK6__halfPKjS6_S4_PS2_iiiibPKi.uses_vcc, 1
	.set _ZN4vllm4gptq33gemm_half_q_half_gptq_2bit_kernelILb1ELi1EEEvPK6__halfPKjS6_S4_PS2_iiiibPKi.uses_flat_scratch, 0
	.set _ZN4vllm4gptq33gemm_half_q_half_gptq_2bit_kernelILb1ELi1EEEvPK6__halfPKjS6_S4_PS2_iiiibPKi.has_dyn_sized_stack, 0
	.set _ZN4vllm4gptq33gemm_half_q_half_gptq_2bit_kernelILb1ELi1EEEvPK6__halfPKjS6_S4_PS2_iiiibPKi.has_recursion, 0
	.set _ZN4vllm4gptq33gemm_half_q_half_gptq_2bit_kernelILb1ELi1EEEvPK6__halfPKjS6_S4_PS2_iiiibPKi.has_indirect_call, 0
	.section	.AMDGPU.csdata,"",@progbits
; Kernel info:
; codeLenInByte = 2640
; TotalNumSgprs: 25
; NumVgprs: 63
; ScratchSize: 0
; MemoryBound: 0
; FloatMode: 240
; IeeeMode: 1
; LDSByteSize: 256 bytes/workgroup (compile time only)
; SGPRBlocks: 0
; VGPRBlocks: 7
; NumSGPRsForWavesPerEU: 25
; NumVGPRsForWavesPerEU: 63
; Occupancy: 16
; WaveLimiterHint : 0
; COMPUTE_PGM_RSRC2:SCRATCH_EN: 0
; COMPUTE_PGM_RSRC2:USER_SGPR: 6
; COMPUTE_PGM_RSRC2:TRAP_HANDLER: 0
; COMPUTE_PGM_RSRC2:TGID_X_EN: 1
; COMPUTE_PGM_RSRC2:TGID_Y_EN: 1
; COMPUTE_PGM_RSRC2:TGID_Z_EN: 1
; COMPUTE_PGM_RSRC2:TIDIG_COMP_CNT: 0
	.section	.text._ZN4vllm4gptq33gemm_half_q_half_gptq_3bit_kernelILb1ELi1EEEvPK6__halfPKjS6_S4_PS2_iiiibPKi,"axG",@progbits,_ZN4vllm4gptq33gemm_half_q_half_gptq_3bit_kernelILb1ELi1EEEvPK6__halfPKjS6_S4_PS2_iiiibPKi,comdat
	.protected	_ZN4vllm4gptq33gemm_half_q_half_gptq_3bit_kernelILb1ELi1EEEvPK6__halfPKjS6_S4_PS2_iiiibPKi ; -- Begin function _ZN4vllm4gptq33gemm_half_q_half_gptq_3bit_kernelILb1ELi1EEEvPK6__halfPKjS6_S4_PS2_iiiibPKi
	.globl	_ZN4vllm4gptq33gemm_half_q_half_gptq_3bit_kernelILb1ELi1EEEvPK6__halfPKjS6_S4_PS2_iiiibPKi
	.p2align	8
	.type	_ZN4vllm4gptq33gemm_half_q_half_gptq_3bit_kernelILb1ELi1EEEvPK6__halfPKjS6_S4_PS2_iiiibPKi,@function
_ZN4vllm4gptq33gemm_half_q_half_gptq_3bit_kernelILb1ELi1EEEvPK6__halfPKjS6_S4_PS2_iiiibPKi: ; @_ZN4vllm4gptq33gemm_half_q_half_gptq_3bit_kernelILb1ELi1EEEvPK6__halfPKjS6_S4_PS2_iiiibPKi
; %bb.0:
	s_load_dwordx4 s[16:19], s[4:5], 0x2c
	s_lshl_b32 s20, s8, 7
	s_load_dwordx8 s[8:15], s[4:5], 0x8
	s_add_i32 s0, s20, 0x80
	s_mov_b32 s22, exec_lo
	v_cvt_f64_u32_e32 v[1:2], s0
	s_waitcnt lgkmcnt(0)
	v_cvt_f64_i32_e32 v[3:4], s17
	v_min_f64 v[1:2], v[1:2], v[3:4]
	v_cvt_i32_f64_e32 v2, v[1:2]
	v_add_nc_u32_e32 v1, s20, v0
	v_readfirstlane_b32 s21, v2
	v_cmpx_lt_u32_e64 v1, v2
	s_cbranch_execz .LBB16_4
; %bb.1:
	s_clause 0x1
	s_load_dwordx2 s[2:3], s[4:5], 0x40
	s_load_dwordx2 s[0:1], s[4:5], 0x0
	v_mov_b32_e32 v2, 0
	s_waitcnt lgkmcnt(0)
	s_cmp_eq_u64 s[2:3], 0
	s_cbranch_scc1 .LBB16_3
; %bb.2:
	v_lshlrev_b64 v[1:2], 2, v[1:2]
	v_add_co_u32 v1, vcc_lo, s2, v1
	v_add_co_ci_u32_e64 v2, null, s3, v2, vcc_lo
	global_load_dword v1, v[1:2], off
	s_waitcnt vmcnt(0)
	v_ashrrev_i32_e32 v2, 31, v1
.LBB16_3:
	s_mul_i32 s2, s17, s7
	v_lshlrev_b64 v[1:2], 1, v[1:2]
	s_ashr_i32 s3, s2, 31
	s_lshl_b64 s[2:3], s[2:3], 1
	s_add_u32 s0, s0, s2
	s_addc_u32 s1, s1, s3
	v_add_co_u32 v1, vcc_lo, s0, v1
	v_add_co_ci_u32_e64 v2, null, s1, v2, vcc_lo
	global_load_ushort v1, v[1:2], off
	v_lshlrev_b32_e32 v2, 1, v0
	s_waitcnt vmcnt(0)
	ds_write_b16 v2, v1
.LBB16_4:
	s_or_b32 exec_lo, exec_lo, s22
	v_lshlrev_b32_e32 v1, 2, v0
	s_mov_b32 s0, exec_lo
	v_lshl_add_u32 v0, s6, 9, v1
	v_cmpx_gt_i32_e64 s16, v0
	s_cbranch_execz .LBB16_48
; %bb.5:
	s_abs_i32 s0, s18
	s_abs_i32 s3, s17
	v_cvt_f32_u32_e32 v2, s0
	s_sub_i32 s2, 0, s0
	v_and_b32_e32 v3, 28, v1
	s_waitcnt lgkmcnt(0)
	s_barrier
	v_rcp_iflag_f32_e32 v2, v2
	buffer_gl0_inv
	v_cmp_lt_u32_e32 vcc_lo, 4, v3
                                        ; implicit-def: $vgpr4
	v_mul_f32_e32 v2, 0x4f7ffffe, v2
	v_cvt_u32_f32_e32 v2, v2
	v_readfirstlane_b32 s1, v2
	s_mul_i32 s2, s2, s1
	s_mul_hi_u32 s2, s1, s2
	s_add_i32 s1, s1, s2
	s_xor_b32 s2, s17, s18
	s_mul_hi_u32 s1, s3, s1
	s_ashr_i32 s2, s2, 31
	s_mul_i32 s4, s1, s0
	s_sub_i32 s3, s3, s4
	s_add_i32 s4, s1, 1
	s_sub_i32 s5, s3, s0
	s_cmp_ge_u32 s3, s0
	s_cselect_b32 s1, s4, s1
	s_cselect_b32 s3, s5, s3
	s_add_i32 s4, s1, 1
	s_cmp_ge_u32 s3, s0
	s_cselect_b32 s0, s4, s1
	s_xor_b32 s0, s0, s2
	s_sub_i32 s6, s0, s2
	v_cvt_f32_u32_e32 v2, s6
	s_sub_i32 s1, 0, s6
	v_rcp_iflag_f32_e32 v2, v2
	v_mul_f32_e32 v2, 0x4f7ffffe, v2
	v_cvt_u32_f32_e32 v2, v2
	v_readfirstlane_b32 s0, v2
	s_mul_i32 s1, s1, s0
	s_mul_hi_u32 s1, s0, s1
	s_add_i32 s0, s0, s1
	s_mul_hi_u32 s0, s20, s0
	s_mul_i32 s1, s0, s6
	s_add_i32 s2, s0, 1
	s_sub_i32 s1, s20, s1
	s_sub_i32 s3, s1, s6
	s_cmp_ge_u32 s1, s6
	s_cselect_b32 s0, s2, s0
	s_cselect_b32 s1, s3, s1
	s_add_i32 s2, s0, 1
	s_cmp_ge_u32 s1, s6
	s_cselect_b32 s18, s2, s0
	s_and_saveexec_b32 s0, vcc_lo
	s_xor_b32 s1, exec_lo, s0
	s_cbranch_execz .LBB16_19
; %bb.6:
	s_mov_b32 s2, exec_lo
                                        ; implicit-def: $vgpr4
	v_cmpx_ne_u32_e32 8, v3
	s_xor_b32 s2, exec_lo, s2
	s_cbranch_execz .LBB16_16
; %bb.7:
	s_mov_b32 s3, exec_lo
                                        ; implicit-def: $vgpr4
	v_cmpx_lt_u32_e32 16, v3
	s_xor_b32 s3, exec_lo, s3
	s_cbranch_execz .LBB16_13
; %bb.8:
	v_lshl_add_u32 v1, v0, 1, v0
	s_mul_i32 s0, s18, s16
                                        ; implicit-def: $vgpr4
	s_ashr_i32 s4, s0, 31
	s_lshr_b32 s4, s4, 27
	v_ashrrev_i32_e32 v2, 31, v1
	s_add_i32 s0, s0, s4
	s_ashr_i32 s0, s0, 5
	v_lshrrev_b32_e32 v2, 27, v2
	v_add_nc_u32_e32 v1, v1, v2
	v_ashrrev_i32_e32 v1, 5, v1
	v_mad_u64_u32 v[1:2], null, s0, 3, v[1:2]
	v_ashrrev_i32_e32 v2, 31, v1
	v_lshlrev_b64 v[1:2], 2, v[1:2]
	v_add_co_u32 v1, s0, s10, v1
	v_add_co_ci_u32_e64 v2, null, s11, v2, s0
	v_cmp_ne_u32_e64 s0, 20, v3
	global_load_dword v5, v[1:2], off
	s_and_saveexec_b32 s4, s0
	s_xor_b32 s0, exec_lo, s4
	s_cbranch_execz .LBB16_10
; %bb.9:
	v_mad_u32_u24 v1, v3, 3, 0xffffffc0
	s_waitcnt vmcnt(0)
	v_lshrrev_b32_e32 v4, v1, v5
                                        ; implicit-def: $vgpr1_vgpr2
                                        ; implicit-def: $vgpr5
.LBB16_10:
	s_andn2_saveexec_b32 s0, s0
	s_cbranch_execz .LBB16_12
; %bb.11:
	global_load_dword v1, v[1:2], off offset:4
	s_waitcnt vmcnt(0)
	v_alignbit_b32 v1, v1, v5, 28
	v_and_b32_e32 v4, 0xfff, v1
.LBB16_12:
	s_or_b32 exec_lo, exec_lo, s0
.LBB16_13:
	s_andn2_saveexec_b32 s3, s3
	s_cbranch_execz .LBB16_15
; %bb.14:
	v_lshl_add_u32 v1, v0, 1, v0
	s_mul_i32 s0, s18, s16
	s_ashr_i32 s4, s0, 31
	s_lshr_b32 s4, s4, 27
	v_ashrrev_i32_e32 v2, 31, v1
	s_add_i32 s0, s0, s4
	s_ashr_i32 s0, s0, 5
	v_lshrrev_b32_e32 v2, 27, v2
	v_add_nc_u32_e32 v1, v1, v2
	v_ashrrev_i32_e32 v1, 5, v1
	v_mad_u64_u32 v[1:2], null, s0, 3, v[1:2]
	v_ashrrev_i32_e32 v2, 31, v1
	v_lshlrev_b64 v[1:2], 2, v[1:2]
	v_add_co_u32 v1, s0, s10, v1
	v_add_co_ci_u32_e64 v2, null, s11, v2, s0
	global_load_dword v1, v[1:2], off
	v_mad_u32_u24 v2, v3, 3, 0xffffffe0
	s_waitcnt vmcnt(0)
	v_lshrrev_b32_e32 v4, v2, v1
.LBB16_15:
	s_or_b32 exec_lo, exec_lo, s3
.LBB16_16:
	s_andn2_saveexec_b32 s2, s2
	s_cbranch_execz .LBB16_18
; %bb.17:
	v_lshl_add_u32 v1, v0, 1, v0
	s_mul_i32 s0, s18, s16
	s_ashr_i32 s3, s0, 31
	s_lshr_b32 s3, s3, 27
	v_ashrrev_i32_e32 v2, 31, v1
	s_add_i32 s0, s0, s3
	s_ashr_i32 s0, s0, 5
	v_lshrrev_b32_e32 v2, 27, v2
	v_add_nc_u32_e32 v1, v1, v2
	v_ashrrev_i32_e32 v1, 5, v1
	v_mad_u64_u32 v[1:2], null, s0, 3, v[1:2]
	v_ashrrev_i32_e32 v2, 31, v1
	v_lshlrev_b64 v[1:2], 2, v[1:2]
	v_add_co_u32 v1, s0, s10, v1
	v_add_co_ci_u32_e64 v2, null, s11, v2, s0
	global_load_dwordx2 v[1:2], v[1:2], off
	s_waitcnt vmcnt(0)
	v_perm_b32 v1, v1, v2, 0x2010007
	v_and_b32_e32 v4, 0xfff, v1
.LBB16_18:
	s_or_b32 exec_lo, exec_lo, s2
.LBB16_19:
	s_or_saveexec_b32 s1, s1
	v_lshl_add_u32 v2, v0, 1, v0
	v_mul_u32_u24_e32 v13, 3, v3
	v_ashrrev_i32_e32 v7, 31, v2
	s_xor_b32 exec_lo, exec_lo, s1
	s_cbranch_execz .LBB16_21
; %bb.20:
	v_lshrrev_b32_e32 v1, 27, v7
	s_mul_i32 s0, s18, s16
	s_ashr_i32 s2, s0, 31
	s_lshr_b32 s2, s2, 27
	v_add_nc_u32_e32 v1, v2, v1
	s_add_i32 s0, s0, s2
	s_ashr_i32 s0, s0, 5
	v_ashrrev_i32_e32 v1, 5, v1
	s_waitcnt vmcnt(0)
	v_mad_u64_u32 v[4:5], null, s0, 3, v[1:2]
	v_ashrrev_i32_e32 v5, 31, v4
	v_lshlrev_b64 v[4:5], 2, v[4:5]
	v_add_co_u32 v4, s0, s10, v4
	v_add_co_ci_u32_e64 v5, null, s11, v5, s0
	global_load_dword v1, v[4:5], off
	s_waitcnt vmcnt(0)
	v_lshrrev_b32_e32 v4, v13, v1
.LBB16_21:
	s_or_b32 exec_lo, exec_lo, s1
	s_cmp_ge_i32 s20, s21
	s_mov_b32 s22, 0
	s_cbranch_scc1 .LBB16_42
; %bb.22:
	v_ashrrev_i32_e32 v1, 31, v0
	s_add_i32 s23, s6, s20
	v_lshrrev_b32_e32 v7, 27, v7
	v_bfe_u32 v20, v4, 9, 3
	v_bfe_u32 v21, v4, 6, 3
	s_waitcnt vmcnt(0)
	v_mad_u64_u32 v[5:6], null, s18, s16, v[0:1]
	v_bfe_u32 v22, v4, 3, 3
	v_and_b32_e32 v23, 7, v4
	v_cmp_lt_u32_e64 s1, 16, v3
	v_cmp_ne_u32_e64 s2, 20, v3
	v_mad_u32_u24 v16, v3, 3, 0xffffffc0
	v_mad_u32_u24 v17, v3, 3, 0xffffffe0
	v_ashrrev_i32_e32 v6, 31, v5
	v_add_nc_u32_e32 v2, v2, v7
	v_mov_b32_e32 v14, 0
	v_mov_b32_e32 v18, 0x10001
	;; [unrolled: 1-line block ×3, first 2 shown]
	v_lshlrev_b64 v[5:6], 1, v[5:6]
	v_ashrrev_i32_e32 v2, 5, v2
	s_mov_b32 s24, 0x380038
	s_mov_b32 s25, 0x1c001c0
	v_add_co_u32 v5, s0, s12, v5
	v_add_co_ci_u32_e64 v6, null, s13, v6, s0
	s_lshr_b32 s0, s20, 5
	s_mul_i32 s0, s0, s16
	global_load_dwordx2 v[5:6], v[5:6], off
	s_mul_i32 s4, s0, 3
	s_ashr_i32 s5, s4, 31
	s_bitcmp1_b32 s19, 0
	s_mov_b32 s19, 0x70007
	s_cselect_b32 s0, -1, 0
	s_lshl_b64 s[4:5], s[4:5], 2
	s_xor_b32 s0, s0, -1
	s_ashr_i32 s17, s16, 31
	v_cndmask_b32_e64 v15, 0, 1, s0
	v_cmp_ne_u32_e64 s0, 8, v3
	v_lshlrev_b64 v[3:4], 2, v[0:1]
	s_add_u32 s3, s8, s4
	s_addc_u32 s4, s9, s5
	v_mov_b32_e32 v1, 0
	s_mul_hi_i32 s8, s16, 12
	s_mul_i32 s9, s16, 12
	v_add_co_u32 v3, s3, s3, v3
	v_add_co_ci_u32_e64 v4, null, s4, v4, s3
	s_lshl_b64 s[4:5], s[16:17], 2
	s_mov_b32 s17, 0x10001
	s_branch .LBB16_25
.LBB16_23:                              ;   in Loop: Header=BB16_25 Depth=1
	s_or_b32 exec_lo, exec_lo, s3
	v_add_nc_u32_e32 v5, s26, v0
	v_and_b32_e32 v23, 7, v7
	v_bfe_u32 v22, v7, 3, 3
	v_bfe_u32 v21, v7, 6, 3
	;; [unrolled: 1-line block ×3, first 2 shown]
	v_ashrrev_i32_e32 v6, 31, v5
	s_add_i32 s23, s23, s6
	v_lshlrev_b64 v[5:6], 1, v[5:6]
	v_add_co_u32 v5, s3, s12, v5
	v_add_co_ci_u32_e64 v6, null, s13, v6, s3
	global_load_dwordx2 v[5:6], v[5:6], off
.LBB16_24:                              ;   in Loop: Header=BB16_25 Depth=1
	v_add_co_u32 v7, s3, v3, s4
	s_waitcnt vmcnt(1)
	v_add_co_ci_u32_e64 v8, null, s5, v4, s3
	global_load_dwordx4 v[26:29], v[3:4], off
	v_add_nc_u32_e32 v24, v23, v15
	v_mov_b32_e32 v25, s22
	global_load_dwordx4 v[37:40], v[7:8], off
	v_add_co_u32 v7, s3, v7, s4
	v_add_co_ci_u32_e64 v8, null, s5, v8, s3
	ds_read2_b32 v[68:69], v25 offset1:1
	v_add_co_u32 v3, s3, v3, s9
	global_load_dwordx4 v[41:44], v[7:8], off
	v_cvt_f32_u32_e32 v7, v24
	v_mad_u32_u24 v24, v24, s17, 0xe400e400
	v_add_co_ci_u32_e64 v4, null, s8, v4, s3
	s_add_i32 s20, s20, 32
	v_cvt_f16_f32_e32 v66, v7
	s_add_i32 s22, s22, 64
	s_cmp_ge_i32 s20, s21
	s_waitcnt vmcnt(2)
	v_and_or_b32 v48, v26, s19, 0x64006400
	v_and_or_b32 v62, v26, s24, 0x64006400
	v_lshrrev_b32_e32 v67, 6, v26
	s_waitcnt vmcnt(1)
	v_and_or_b32 v7, v37, s19, 0x64006400
	v_and_or_b32 v57, v37, s24, 0x64006400
	v_lshrrev_b32_e32 v32, 6, v37
	v_lshrrev_b32_e32 v58, 14, v37
	v_and_or_b32 v11, v38, s19, 0x64006400
	v_and_or_b32 v56, v38, s24, 0x64006400
	v_lshrrev_b32_e32 v36, 6, v38
	v_lshrrev_b32_e32 v59, 14, v38
	;; [unrolled: 4-line block ×4, first 2 shown]
	s_waitcnt vmcnt(0)
	v_and_or_b32 v30, v42, s19, 0x64006400
	v_and_or_b32 v46, v42, s24, 0x64006400
	v_lshrrev_b32_e32 v35, 6, v42
	v_lshrrev_b32_e32 v47, 13, v42
	v_and_or_b32 v33, v43, s19, 0x64006400
	v_and_or_b32 v40, v43, s24, 0x64006400
	v_lshrrev_b32_e32 v37, 6, v43
	v_lshrrev_b32_e32 v45, 13, v43
	v_sub_f16_e32 v42, 0xd800, v66
	v_add_nc_u32_e32 v43, v22, v15
	v_lshrrev_b32_e32 v53, 15, v26
	v_and_or_b32 v70, v27, s19, 0x64006400
	v_and_or_b32 v71, v27, s24, 0x64006400
	v_lshrrev_b32_e32 v10, 6, v27
	v_lshrrev_b32_e32 v52, 15, v27
	v_and_or_b32 v72, v28, s19, 0x64006400
	v_and_or_b32 v73, v28, s24, 0x64006400
	v_lshrrev_b32_e32 v9, 6, v28
	;; [unrolled: 4-line block ×5, first 2 shown]
	v_lshrrev_b32_e32 v41, 13, v44
	v_mul_u32_u24_sdwa v64, v42, v18 dst_sel:DWORD dst_unused:UNUSED_PAD src0_sel:WORD_0 src1_sel:DWORD
	v_pk_add_f16 v42, v24, v48
	v_cvt_f32_u32_e32 v44, v43
	v_sub_f16_e32 v66, 0xcc00, v66
	v_pk_add_f16 v7, v24, v7
	v_pk_fma_f16 v48, 0x3000, v62, v64 op_sel_hi:[0,1,1]
	s_waitcnt lgkmcnt(0)
	v_pk_fma_f16 v42, v42, v68, 0
	v_cvt_f16_f32_e32 v76, v44
	v_and_b32_e32 v59, 0x20002, v59
	v_and_b32_e32 v60, 0x20002, v60
	v_and_b32_e32 v61, 0x20002, v61
	v_pk_fma_f16 v77, v48, v69, v42
	v_sub_f16_e32 v44, 0xd800, v76
	v_mad_u32_u24 v42, v43, s17, 0xe400e400
	v_and_b32_e32 v58, 0x20002, v58
	v_and_or_b32 v52, 0x10001, v52, v59
	v_and_or_b32 v59, v36, s24, 0x64006400
	v_mul_u32_u24_sdwa v63, v44, v18 dst_sel:DWORD dst_unused:UNUSED_PAD src0_sel:WORD_0 src1_sel:DWORD
	v_pk_add_f16 v43, v42, v70
	v_and_or_b32 v51, 0x10001, v51, v60
	v_and_or_b32 v49, 0x10001, v49, v61
	;; [unrolled: 1-line block ×3, first 2 shown]
	v_pk_fma_f16 v44, 0x3000, v71, v63 op_sel_hi:[0,1,1]
	v_pk_fma_f16 v43, v43, v68, 0
	v_and_b32_e32 v47, 0x40004, v47
	v_and_b32_e32 v45, 0x40004, v45
	v_pk_fma_f16 v57, 0x3000, v57, v64 op_sel_hi:[0,1,1]
	v_and_or_b32 v53, 0x10001, v53, v58
	v_pk_fma_f16 v70, v44, v69, v43
	v_add_nc_u32_e32 v43, v21, v15
	v_and_or_b32 v58, v32, s25, 0x64006400
	v_pk_fma_f16 v56, 0x3000, v56, v63 op_sel_hi:[0,1,1]
	v_and_or_b32 v60, v36, s25, 0x64006400
	v_pk_fma_f16 v50, 0x3000, v50, v64 op_sel_hi:[0,1,1]
	v_cvt_f32_u32_e32 v44, v43
	v_mad_u32_u24 v43, v43, s17, 0xe400e400
	v_pk_fma_f16 v61, 0x3000, v61, v64 op_sel_hi:[0,1,1]
	v_pk_fma_f16 v59, 0x3000, v59, v63 op_sel_hi:[0,1,1]
	v_or3_b32 v47, v52, v47, 0x64006400
	v_cvt_f16_f32_e32 v78, v44
	v_or3_b32 v51, v51, v45, 0x64006400
	v_and_or_b32 v45, v37, s25, 0x64006400
	v_and_or_b32 v36, v36, s19, 0x64006400
	v_and_b32_e32 v55, 0x40004, v55
	v_sub_f16_e32 v44, 0xd800, v78
	v_pk_add_f16 v29, v24, v29
	v_pk_add_f16 v30, v42, v30
	;; [unrolled: 1-line block ×3, first 2 shown]
	v_or3_b32 v53, v53, v55, 0x64006400
	v_mul_u32_u24_sdwa v62, v44, v18 dst_sel:DWORD dst_unused:UNUSED_PAD src0_sel:WORD_0 src1_sel:DWORD
	v_pk_add_f16 v44, v43, v72
	v_and_or_b32 v55, v31, s25, 0x64006400
	v_and_or_b32 v31, v31, s19, 0x64006400
	v_pk_add_f16 v33, v43, v33
	v_pk_fma_f16 v48, 0x3000, v73, v62 op_sel_hi:[0,1,1]
	v_pk_fma_f16 v44, v44, v68, 0
	v_pk_fma_f16 v54, 0x3000, v54, v62 op_sel_hi:[0,1,1]
	v_pk_add_f16 v31, v24, v31
	v_pk_fma_f16 v71, v48, v69, v44
	v_add_nc_u32_e32 v44, v20, v15
	v_cvt_f32_u32_e32 v48, v44
	v_mad_u32_u24 v44, v44, s17, 0xe400e400
	v_cvt_f16_f32_e32 v72, v48
	v_pk_add_f16 v73, v44, v74
	v_pk_add_f16 v26, v44, v26
	v_sub_f16_e32 v48, 0xd800, v72
	v_pk_fma_f16 v68, v73, v68, 0
	v_mul_u32_u24_sdwa v48, v48, v18 dst_sel:DWORD dst_unused:UNUSED_PAD src0_sel:WORD_0 src1_sel:DWORD
	v_pk_fma_f16 v74, 0x3000, v75, v48 op_sel_hi:[0,1,1]
	v_and_or_b32 v75, v10, s19, 0x64006400
	v_pk_fma_f16 v27, 0x3000, v27, v48 op_sel_hi:[0,1,1]
	v_pk_fma_f16 v73, v74, v69, v68
	v_and_or_b32 v68, v67, s19, 0x64006400
	v_pk_add_f16 v75, v42, v75
	v_pk_add_f16 v74, v24, v68
	ds_read2_b32 v[68:69], v25 offset0:2 offset1:3
	s_waitcnt lgkmcnt(0)
	v_pk_fma_f16 v70, v75, v68, v70
	v_and_or_b32 v75, v9, s19, 0x64006400
	v_pk_fma_f16 v74, v74, v68, v77
	v_mul_u32_u24_sdwa v77, v66, v18 dst_sel:DWORD dst_unused:UNUSED_PAD src0_sel:WORD_0 src1_sel:DWORD
	v_and_or_b32 v66, v67, s25, 0x64006400
	v_pk_add_f16 v75, v43, v75
	v_pk_fma_f16 v58, 0x2400, v58, v77 op_sel_hi:[0,1,1]
	v_pk_fma_f16 v66, 0x2400, v66, v77 op_sel_hi:[0,1,1]
	;; [unrolled: 1-line block ×3, first 2 shown]
	v_pk_fma_f16 v71, v75, v68, v71
	v_and_or_b32 v75, v8, s19, 0x64006400
	v_pk_add_f16 v75, v44, v75
	v_pk_fma_f16 v68, v75, v68, v73
	v_and_or_b32 v73, v67, s24, 0x64006400
	v_pk_fma_f16 v73, 0x3000, v73, v64 op_sel_hi:[0,1,1]
	v_pk_fma_f16 v73, v73, v69, v74
	v_and_or_b32 v74, v10, s24, 0x64006400
	v_and_or_b32 v10, v10, s25, 0x64006400
	v_pk_fma_f16 v74, 0x3000, v74, v63 op_sel_hi:[0,1,1]
	v_pk_fma_f16 v74, v74, v69, v70
	v_and_or_b32 v70, v9, s24, 0x64006400
	;; [unrolled: 4-line block ×3, first 2 shown]
	v_and_or_b32 v8, v8, s25, 0x64006400
	v_pk_fma_f16 v70, 0x3000, v70, v48 op_sel_hi:[0,1,1]
	v_pk_fma_f16 v68, v70, v69, v68
	ds_read2_b32 v[70:71], v25 offset0:4 offset1:5
	s_waitcnt lgkmcnt(0)
	v_pk_fma_f16 v67, v66, v70, v73
	v_sub_f16_e32 v66, 0xcc00, v76
	v_mul_u32_u24_sdwa v73, v66, v18 dst_sel:DWORD dst_unused:UNUSED_PAD src0_sel:WORD_0 src1_sel:DWORD
	v_sub_f16_e32 v66, 0xcc00, v78
	v_pk_fma_f16 v10, 0x2400, v10, v73 op_sel_hi:[0,1,1]
	v_mul_u32_u24_sdwa v69, v66, v18 dst_sel:DWORD dst_unused:UNUSED_PAD src0_sel:WORD_0 src1_sel:DWORD
	v_sub_f16_e32 v66, 0xcc00, v72
	v_pk_add_f16 v72, v42, v11
	v_pk_fma_f16 v60, 0x2400, v60, v73 op_sel_hi:[0,1,1]
	v_pk_fma_f16 v10, v10, v70, v74
	v_pk_fma_f16 v9, 0x2400, v9, v69 op_sel_hi:[0,1,1]
	v_mul_u32_u24_sdwa v66, v66, v18 dst_sel:DWORD dst_unused:UNUSED_PAD src0_sel:WORD_0 src1_sel:DWORD
	v_pk_add_f16 v74, v43, v12
	ds_read2_b32 v[11:12], v25 offset0:6 offset1:7
	v_pk_fma_f16 v9, v9, v70, v75
	v_pk_fma_f16 v8, 0x2400, v8, v66 op_sel_hi:[0,1,1]
	v_pk_add_f16 v75, v44, v65
	v_pk_fma_f16 v65, v7, v71, v67
	v_pk_fma_f16 v8, v8, v70, v68
	;; [unrolled: 1-line block ×4, first 2 shown]
	ds_read2_b32 v[9:10], v25 offset0:8 offset1:9
	v_and_or_b32 v72, v35, s24, 0x64006400
	v_pk_fma_f16 v67, v75, v71, v8
	v_and_or_b32 v71, v32, s24, 0x64006400
	v_pk_fma_f16 v74, 0x3000, v46, v63 op_sel_hi:[0,1,1]
	v_and_or_b32 v46, v35, s25, 0x64006400
	v_pk_fma_f16 v52, 0x3000, v72, v63 op_sel_hi:[0,1,1]
	;; [unrolled: 2-line block ×4, first 2 shown]
	v_and_or_b32 v46, v37, s24, 0x64006400
	v_and_or_b32 v32, v32, s19, 0x64006400
	ds_read2_b32 v[7:8], v25 offset0:10 offset1:11
	v_pk_fma_f16 v64, 0x3000, v64, v62 op_sel_hi:[0,1,1]
	v_pk_fma_f16 v73, 0x3000, v40, v62 op_sel_hi:[0,1,1]
	v_and_b32_e32 v75, 0x40004, v41
	v_pk_fma_f16 v63, 0x2400, v63, v69 op_sel_hi:[0,1,1]
	v_pk_fma_f16 v62, 0x3000, v46, v62 op_sel_hi:[0,1,1]
	;; [unrolled: 1-line block ×3, first 2 shown]
	ds_read2_b32 v[40:41], v25 offset0:12 offset1:13
	ds_read2_b32 v[45:46], v25 offset0:14 offset1:15
	v_pk_fma_f16 v25, 0x3000, v39, v48 op_sel_hi:[0,1,1]
	v_and_or_b32 v38, v38, s19, 0x64006400
	s_waitcnt lgkmcnt(4)
	v_pk_fma_f16 v39, v57, v11, v65
	v_and_or_b32 v57, v34, s19, 0x64006400
	v_pk_fma_f16 v56, v56, v11, v70
	v_pk_add_f16 v32, v24, v32
	v_and_or_b32 v65, v34, s24, 0x64006400
	v_pk_add_f16 v38, v43, v38
	v_pk_add_f16 v57, v44, v57
	v_pk_fma_f16 v54, v54, v11, v68
	v_pk_fma_f16 v11, v25, v11, v67
	;; [unrolled: 1-line block ×4, first 2 shown]
	v_and_or_b32 v34, v34, s25, 0x64006400
	v_pk_fma_f16 v65, 0x3000, v65, v48 op_sel_hi:[0,1,1]
	v_pk_fma_f16 v38, v38, v12, v54
	v_pk_fma_f16 v11, v57, v12, v11
	s_waitcnt lgkmcnt(3)
	v_pk_fma_f16 v12, v71, v9, v32
	v_pk_fma_f16 v32, v59, v9, v36
	v_pk_fma_f16 v34, 0x2400, v34, v66 op_sel_hi:[0,1,1]
	v_pk_fma_f16 v38, v64, v9, v38
	v_pk_fma_f16 v9, v65, v9, v11
	;; [unrolled: 1-line block ×4, first 2 shown]
	v_and_or_b32 v35, v35, s19, 0x64006400
	v_and_or_b32 v68, v28, s19, 0x64006400
	;; [unrolled: 1-line block ×4, first 2 shown]
	v_pk_fma_f16 v32, v63, v10, v38
	v_pk_fma_f16 v9, v34, v10, v9
	s_waitcnt lgkmcnt(2)
	v_pk_fma_f16 v10, v29, v7, v11
	v_pk_fma_f16 v11, v30, v7, v12
	v_and_or_b32 v37, v37, s19, 0x64006400
	v_pk_add_f16 v35, v42, v35
	v_pk_fma_f16 v12, 0x2400, v28, v66 op_sel_hi:[0,1,1]
	v_pk_fma_f16 v28, v33, v7, v32
	v_pk_fma_f16 v7, v26, v7, v9
	;; [unrolled: 1-line block ×4, first 2 shown]
	v_pk_add_f16 v37, v43, v37
	v_pk_add_f16 v36, v44, v68
	;; [unrolled: 1-line block ×3, first 2 shown]
	v_pk_fma_f16 v24, v73, v8, v28
	v_pk_fma_f16 v7, v27, v8, v7
	s_waitcnt lgkmcnt(1)
	v_pk_fma_f16 v8, v31, v40, v9
	v_pk_fma_f16 v9, v35, v40, v10
	v_pk_fma_f16 v25, 0x3000, v25, v48 op_sel_hi:[0,1,1]
	v_pk_fma_f16 v24, v37, v40, v24
	v_pk_fma_f16 v7, v36, v40, v7
	;; [unrolled: 1-line block ×4, first 2 shown]
	v_or3_b32 v49, v49, v75, 0x64006400
	v_pk_add_f16 v10, v42, v47
	v_pk_fma_f16 v24, v62, v41, v24
	v_pk_fma_f16 v7, v25, v41, v7
	s_waitcnt lgkmcnt(0)
	v_pk_fma_f16 v8, v55, v45, v8
	v_pk_fma_f16 v9, v72, v45, v9
	v_pk_add_f16 v26, v43, v51
	v_pk_add_f16 v25, v44, v49
	v_pk_fma_f16 v24, v69, v45, v24
	v_pk_fma_f16 v7, v12, v45, v7
	;; [unrolled: 1-line block ×6, first 2 shown]
	v_pack_b32_f16 v11, v8, v9
	v_perm_b32 v8, v9, v8, 0x7060302
	v_lshrrev_b32_e32 v9, 16, v6
	v_add_f16_sdwa v10, v10, v10 dst_sel:DWORD dst_unused:UNUSED_PAD src0_sel:DWORD src1_sel:WORD_1
	v_add_f16_sdwa v7, v7, v7 dst_sel:DWORD dst_unused:UNUSED_PAD src0_sel:DWORD src1_sel:WORD_1
	v_pk_add_f16 v8, v11, v8
	v_fmac_f16_e32 v19, v10, v6
	v_fmac_f16_e32 v1, v7, v9
	v_pk_fma_f16 v14, v8, v5, v14
	s_cbranch_scc1 .LBB16_43
.LBB16_25:                              ; =>This Inner Loop Header: Depth=1
	s_cmp_lg_u32 s20, s23
	s_cbranch_scc1 .LBB16_24
; %bb.26:                               ;   in Loop: Header=BB16_25 Depth=1
	s_add_i32 s18, s18, 1
                                        ; implicit-def: $vgpr7
	s_mul_i32 s26, s18, s16
	s_ashr_i32 s3, s26, 31
	s_lshr_b32 s3, s3, 27
	s_add_i32 s3, s26, s3
	s_ashr_i32 s3, s3, 5
	s_waitcnt vmcnt(0)
	v_mad_u64_u32 v[5:6], null, s3, 3, v[2:3]
	v_ashrrev_i32_e32 v6, 31, v5
	v_lshlrev_b64 v[5:6], 2, v[5:6]
	v_add_co_u32 v5, s3, s10, v5
	v_add_co_ci_u32_e64 v6, null, s11, v6, s3
	global_load_dword v8, v[5:6], off
	s_and_saveexec_b32 s3, vcc_lo
	s_xor_b32 s3, exec_lo, s3
	s_cbranch_execz .LBB16_40
; %bb.27:                               ;   in Loop: Header=BB16_25 Depth=1
                                        ; implicit-def: $vgpr7
	s_and_saveexec_b32 s27, s0
	s_xor_b32 s27, exec_lo, s27
	s_cbranch_execz .LBB16_37
; %bb.28:                               ;   in Loop: Header=BB16_25 Depth=1
                                        ; implicit-def: $vgpr7
	s_and_saveexec_b32 s28, s1
	;; [unrolled: 5-line block ×3, first 2 shown]
	s_xor_b32 s29, exec_lo, s29
	s_cbranch_execz .LBB16_31
; %bb.30:                               ;   in Loop: Header=BB16_25 Depth=1
	s_waitcnt vmcnt(0)
	v_lshrrev_b32_e32 v7, v16, v8
                                        ; implicit-def: $vgpr5_vgpr6
                                        ; implicit-def: $vgpr8
.LBB16_31:                              ;   in Loop: Header=BB16_25 Depth=1
	s_andn2_saveexec_b32 s29, s29
	s_cbranch_execz .LBB16_33
; %bb.32:                               ;   in Loop: Header=BB16_25 Depth=1
	global_load_dword v5, v[5:6], off offset:4
	s_waitcnt vmcnt(0)
	v_alignbit_b32 v5, v5, v8, 28
	v_and_b32_e32 v7, 0xfff, v5
.LBB16_33:                              ;   in Loop: Header=BB16_25 Depth=1
	s_or_b32 exec_lo, exec_lo, s29
                                        ; implicit-def: $vgpr8
.LBB16_34:                              ;   in Loop: Header=BB16_25 Depth=1
	s_andn2_saveexec_b32 s28, s28
	s_cbranch_execz .LBB16_36
; %bb.35:                               ;   in Loop: Header=BB16_25 Depth=1
	s_waitcnt vmcnt(0)
	v_lshrrev_b32_e32 v7, v17, v8
.LBB16_36:                              ;   in Loop: Header=BB16_25 Depth=1
	s_or_b32 exec_lo, exec_lo, s28
                                        ; implicit-def: $vgpr5_vgpr6
                                        ; implicit-def: $vgpr8
.LBB16_37:                              ;   in Loop: Header=BB16_25 Depth=1
	s_andn2_saveexec_b32 s27, s27
	s_cbranch_execz .LBB16_39
; %bb.38:                               ;   in Loop: Header=BB16_25 Depth=1
	global_load_dword v5, v[5:6], off offset:4
	s_waitcnt vmcnt(0)
	v_perm_b32 v5, v8, v5, 0x2010007
	v_and_b32_e32 v7, 0xfff, v5
.LBB16_39:                              ;   in Loop: Header=BB16_25 Depth=1
	s_or_b32 exec_lo, exec_lo, s27
                                        ; implicit-def: $vgpr8
.LBB16_40:                              ;   in Loop: Header=BB16_25 Depth=1
	s_andn2_saveexec_b32 s3, s3
	s_cbranch_execz .LBB16_23
; %bb.41:                               ;   in Loop: Header=BB16_25 Depth=1
	s_waitcnt vmcnt(0)
	v_lshrrev_b32_e32 v7, v13, v8
	s_branch .LBB16_23
.LBB16_42:
	v_mov_b32_e32 v4, 0
	v_mov_b32_e32 v14, 0
	s_waitcnt vmcnt(0)
	v_mov_b32_e32 v5, 0
	s_branch .LBB16_44
.LBB16_43:
	v_and_b32_e32 v5, 0xffff, v19
	v_lshlrev_b32_e32 v4, 16, v1
.LBB16_44:
	v_mad_u64_u32 v[0:1], null, s16, s7, v[0:1]
	s_mov_b32 s0, 0
	v_ashrrev_i32_e32 v1, 31, v0
	v_lshlrev_b64 v[0:1], 1, v[0:1]
	v_add_co_u32 v0, vcc_lo, s14, v0
	v_add_co_ci_u32_e64 v1, null, s15, v1, vcc_lo
	global_load_dword v3, v[0:1], off
.LBB16_45:                              ; =>This Inner Loop Header: Depth=1
	s_waitcnt vmcnt(0)
	v_pk_add_f16 v2, v14, v3
	global_atomic_cmpswap v2, v[0:1], v[2:3], off glc
	s_waitcnt vmcnt(0)
	v_cmp_eq_u32_e32 vcc_lo, v3, v2
	v_mov_b32_e32 v3, v2
	s_or_b32 s0, vcc_lo, s0
	s_andn2_b32 exec_lo, exec_lo, s0
	s_cbranch_execnz .LBB16_45
; %bb.46:
	s_or_b32 exec_lo, exec_lo, s0
	global_load_dword v3, v[0:1], off offset:4
	v_or_b32_e32 v4, v4, v5
	s_mov_b32 s0, 0
.LBB16_47:                              ; =>This Inner Loop Header: Depth=1
	s_waitcnt vmcnt(0)
	v_pk_add_f16 v2, v4, v3
	global_atomic_cmpswap v2, v[0:1], v[2:3], off offset:4 glc
	s_waitcnt vmcnt(0)
	v_cmp_eq_u32_e32 vcc_lo, v3, v2
	v_mov_b32_e32 v3, v2
	s_or_b32 s0, vcc_lo, s0
	s_andn2_b32 exec_lo, exec_lo, s0
	s_cbranch_execnz .LBB16_47
.LBB16_48:
	s_endpgm
	.section	.rodata,"a",@progbits
	.p2align	6, 0x0
	.amdhsa_kernel _ZN4vllm4gptq33gemm_half_q_half_gptq_3bit_kernelILb1ELi1EEEvPK6__halfPKjS6_S4_PS2_iiiibPKi
		.amdhsa_group_segment_fixed_size 256
		.amdhsa_private_segment_fixed_size 0
		.amdhsa_kernarg_size 72
		.amdhsa_user_sgpr_count 6
		.amdhsa_user_sgpr_private_segment_buffer 1
		.amdhsa_user_sgpr_dispatch_ptr 0
		.amdhsa_user_sgpr_queue_ptr 0
		.amdhsa_user_sgpr_kernarg_segment_ptr 1
		.amdhsa_user_sgpr_dispatch_id 0
		.amdhsa_user_sgpr_flat_scratch_init 0
		.amdhsa_user_sgpr_private_segment_size 0
		.amdhsa_wavefront_size32 1
		.amdhsa_uses_dynamic_stack 0
		.amdhsa_system_sgpr_private_segment_wavefront_offset 0
		.amdhsa_system_sgpr_workgroup_id_x 1
		.amdhsa_system_sgpr_workgroup_id_y 1
		.amdhsa_system_sgpr_workgroup_id_z 1
		.amdhsa_system_sgpr_workgroup_info 0
		.amdhsa_system_vgpr_workitem_id 0
		.amdhsa_next_free_vgpr 79
		.amdhsa_next_free_sgpr 30
		.amdhsa_reserve_vcc 1
		.amdhsa_reserve_flat_scratch 0
		.amdhsa_float_round_mode_32 0
		.amdhsa_float_round_mode_16_64 0
		.amdhsa_float_denorm_mode_32 3
		.amdhsa_float_denorm_mode_16_64 3
		.amdhsa_dx10_clamp 1
		.amdhsa_ieee_mode 1
		.amdhsa_fp16_overflow 0
		.amdhsa_workgroup_processor_mode 1
		.amdhsa_memory_ordered 1
		.amdhsa_forward_progress 1
		.amdhsa_shared_vgpr_count 0
		.amdhsa_exception_fp_ieee_invalid_op 0
		.amdhsa_exception_fp_denorm_src 0
		.amdhsa_exception_fp_ieee_div_zero 0
		.amdhsa_exception_fp_ieee_overflow 0
		.amdhsa_exception_fp_ieee_underflow 0
		.amdhsa_exception_fp_ieee_inexact 0
		.amdhsa_exception_int_div_zero 0
	.end_amdhsa_kernel
	.section	.text._ZN4vllm4gptq33gemm_half_q_half_gptq_3bit_kernelILb1ELi1EEEvPK6__halfPKjS6_S4_PS2_iiiibPKi,"axG",@progbits,_ZN4vllm4gptq33gemm_half_q_half_gptq_3bit_kernelILb1ELi1EEEvPK6__halfPKjS6_S4_PS2_iiiibPKi,comdat
.Lfunc_end16:
	.size	_ZN4vllm4gptq33gemm_half_q_half_gptq_3bit_kernelILb1ELi1EEEvPK6__halfPKjS6_S4_PS2_iiiibPKi, .Lfunc_end16-_ZN4vllm4gptq33gemm_half_q_half_gptq_3bit_kernelILb1ELi1EEEvPK6__halfPKjS6_S4_PS2_iiiibPKi
                                        ; -- End function
	.set _ZN4vllm4gptq33gemm_half_q_half_gptq_3bit_kernelILb1ELi1EEEvPK6__halfPKjS6_S4_PS2_iiiibPKi.num_vgpr, 79
	.set _ZN4vllm4gptq33gemm_half_q_half_gptq_3bit_kernelILb1ELi1EEEvPK6__halfPKjS6_S4_PS2_iiiibPKi.num_agpr, 0
	.set _ZN4vllm4gptq33gemm_half_q_half_gptq_3bit_kernelILb1ELi1EEEvPK6__halfPKjS6_S4_PS2_iiiibPKi.numbered_sgpr, 30
	.set _ZN4vllm4gptq33gemm_half_q_half_gptq_3bit_kernelILb1ELi1EEEvPK6__halfPKjS6_S4_PS2_iiiibPKi.num_named_barrier, 0
	.set _ZN4vllm4gptq33gemm_half_q_half_gptq_3bit_kernelILb1ELi1EEEvPK6__halfPKjS6_S4_PS2_iiiibPKi.private_seg_size, 0
	.set _ZN4vllm4gptq33gemm_half_q_half_gptq_3bit_kernelILb1ELi1EEEvPK6__halfPKjS6_S4_PS2_iiiibPKi.uses_vcc, 1
	.set _ZN4vllm4gptq33gemm_half_q_half_gptq_3bit_kernelILb1ELi1EEEvPK6__halfPKjS6_S4_PS2_iiiibPKi.uses_flat_scratch, 0
	.set _ZN4vllm4gptq33gemm_half_q_half_gptq_3bit_kernelILb1ELi1EEEvPK6__halfPKjS6_S4_PS2_iiiibPKi.has_dyn_sized_stack, 0
	.set _ZN4vllm4gptq33gemm_half_q_half_gptq_3bit_kernelILb1ELi1EEEvPK6__halfPKjS6_S4_PS2_iiiibPKi.has_recursion, 0
	.set _ZN4vllm4gptq33gemm_half_q_half_gptq_3bit_kernelILb1ELi1EEEvPK6__halfPKjS6_S4_PS2_iiiibPKi.has_indirect_call, 0
	.section	.AMDGPU.csdata,"",@progbits
; Kernel info:
; codeLenInByte = 4508
; TotalNumSgprs: 32
; NumVgprs: 79
; ScratchSize: 0
; MemoryBound: 0
; FloatMode: 240
; IeeeMode: 1
; LDSByteSize: 256 bytes/workgroup (compile time only)
; SGPRBlocks: 0
; VGPRBlocks: 9
; NumSGPRsForWavesPerEU: 32
; NumVGPRsForWavesPerEU: 79
; Occupancy: 12
; WaveLimiterHint : 0
; COMPUTE_PGM_RSRC2:SCRATCH_EN: 0
; COMPUTE_PGM_RSRC2:USER_SGPR: 6
; COMPUTE_PGM_RSRC2:TRAP_HANDLER: 0
; COMPUTE_PGM_RSRC2:TGID_X_EN: 1
; COMPUTE_PGM_RSRC2:TGID_Y_EN: 1
; COMPUTE_PGM_RSRC2:TGID_Z_EN: 1
; COMPUTE_PGM_RSRC2:TIDIG_COMP_CNT: 0
	.section	.text._ZN4vllm4gptq33gemm_half_q_half_gptq_4bit_kernelILb1ELi1EEEvPK6__halfPKjS6_S4_PS2_iiiibPKi,"axG",@progbits,_ZN4vllm4gptq33gemm_half_q_half_gptq_4bit_kernelILb1ELi1EEEvPK6__halfPKjS6_S4_PS2_iiiibPKi,comdat
	.protected	_ZN4vllm4gptq33gemm_half_q_half_gptq_4bit_kernelILb1ELi1EEEvPK6__halfPKjS6_S4_PS2_iiiibPKi ; -- Begin function _ZN4vllm4gptq33gemm_half_q_half_gptq_4bit_kernelILb1ELi1EEEvPK6__halfPKjS6_S4_PS2_iiiibPKi
	.globl	_ZN4vllm4gptq33gemm_half_q_half_gptq_4bit_kernelILb1ELi1EEEvPK6__halfPKjS6_S4_PS2_iiiibPKi
	.p2align	8
	.type	_ZN4vllm4gptq33gemm_half_q_half_gptq_4bit_kernelILb1ELi1EEEvPK6__halfPKjS6_S4_PS2_iiiibPKi,@function
_ZN4vllm4gptq33gemm_half_q_half_gptq_4bit_kernelILb1ELi1EEEvPK6__halfPKjS6_S4_PS2_iiiibPKi: ; @_ZN4vllm4gptq33gemm_half_q_half_gptq_4bit_kernelILb1ELi1EEEvPK6__halfPKjS6_S4_PS2_iiiibPKi
; %bb.0:
	s_load_dwordx4 s[0:3], s[4:5], 0x2c
	s_lshl_b32 s18, s8, 7
	s_mov_b32 s20, exec_lo
	s_add_i32 s8, s18, 0x80
	v_cvt_f64_u32_e32 v[1:2], s8
	s_load_dwordx8 s[8:15], s[4:5], 0x8
	s_waitcnt lgkmcnt(0)
	v_cvt_f64_i32_e32 v[3:4], s1
	v_min_f64 v[1:2], v[1:2], v[3:4]
	v_cvt_i32_f64_e32 v2, v[1:2]
	v_add_nc_u32_e32 v1, s18, v0
	v_readfirstlane_b32 s19, v2
	v_cmpx_lt_u32_e64 v1, v2
	s_cbranch_execz .LBB17_4
; %bb.1:
	s_clause 0x1
	s_load_dwordx2 s[16:17], s[4:5], 0x40
	s_load_dwordx2 s[4:5], s[4:5], 0x0
	v_mov_b32_e32 v2, 0
	s_waitcnt lgkmcnt(0)
	s_cmp_eq_u64 s[16:17], 0
	s_cbranch_scc1 .LBB17_3
; %bb.2:
	v_lshlrev_b64 v[1:2], 2, v[1:2]
	v_add_co_u32 v1, vcc_lo, s16, v1
	v_add_co_ci_u32_e64 v2, null, s17, v2, vcc_lo
	global_load_dword v1, v[1:2], off
	s_waitcnt vmcnt(0)
	v_ashrrev_i32_e32 v2, 31, v1
.LBB17_3:
	s_mul_i32 s16, s1, s7
	v_lshlrev_b64 v[1:2], 1, v[1:2]
	s_ashr_i32 s17, s16, 31
	s_lshl_b64 s[16:17], s[16:17], 1
	s_add_u32 s4, s4, s16
	s_addc_u32 s5, s5, s17
	v_add_co_u32 v1, vcc_lo, s4, v1
	v_add_co_ci_u32_e64 v2, null, s5, v2, vcc_lo
	global_load_ushort v1, v[1:2], off
	v_lshlrev_b32_e32 v2, 1, v0
	s_waitcnt vmcnt(0)
	ds_write_b16 v2, v1
.LBB17_4:
	s_or_b32 exec_lo, exec_lo, s20
	v_lshlrev_b32_e32 v1, 2, v0
	s_mov_b32 s4, exec_lo
	v_lshl_add_u32 v1, s6, 9, v1
	v_cmpx_gt_i32_e64 s0, v1
	s_cbranch_execz .LBB17_14
; %bb.5:
	s_abs_i32 s4, s2
	v_mov_b32_e32 v8, 0
	v_cvt_f32_u32_e32 v2, s4
	v_mov_b32_e32 v5, 0
	v_mov_b32_e32 v7, 0
	;; [unrolled: 1-line block ×3, first 2 shown]
	s_cmp_ge_i32 s18, s19
	v_rcp_iflag_f32_e32 v2, v2
	s_waitcnt lgkmcnt(0)
	s_barrier
	buffer_gl0_inv
	v_mul_f32_e32 v2, 0x4f7ffffe, v2
	v_cvt_u32_f32_e32 v2, v2
	v_readfirstlane_b32 s5, v2
	s_cbranch_scc1 .LBB17_10
; %bb.6:
	s_sub_i32 s6, 0, s4
	s_abs_i32 s16, s1
	s_mul_i32 s6, s6, s5
	s_ashr_i32 s1, s1, 31
	s_mul_hi_u32 s6, s5, s6
	s_ashr_i32 s2, s2, 31
	s_add_i32 s5, s5, s6
	s_xor_b32 s1, s1, s2
	s_mul_hi_u32 s5, s16, s5
	s_mov_b32 s20, 0xe400e400
	s_mul_i32 s6, s5, s4
	s_mov_b32 s17, 0
	s_sub_i32 s2, s16, s6
	s_add_i32 s6, s5, 1
	s_sub_i32 s16, s2, s4
	s_cmp_ge_u32 s2, s4
	s_cselect_b32 s5, s6, s5
	s_cselect_b32 s2, s16, s2
	s_add_i32 s6, s5, 1
	s_cmp_ge_u32 s2, s4
	s_cselect_b32 s2, s6, s5
	s_xor_b32 s2, s2, s1
	s_sub_i32 s6, s2, s1
	s_bitcmp1_b32 s3, 0
	v_cvt_f32_u32_e32 v2, s6
	s_cselect_b32 s2, -1, 0
	s_sub_i32 s3, 0, s6
	s_xor_b32 s4, s2, -1
	v_rcp_iflag_f32_e32 v2, v2
	v_cndmask_b32_e64 v10, 0, 1, s4
	v_mul_f32_e32 v2, 0x4f7ffffe, v2
	v_cvt_u32_f32_e32 v2, v2
	v_readfirstlane_b32 s1, v2
	v_ashrrev_i32_e32 v2, 31, v1
	s_mul_i32 s3, s3, s1
	v_lshrrev_b32_e32 v3, 29, v2
	s_mul_hi_u32 s3, s1, s3
	s_add_i32 s1, s1, s3
	v_add_nc_u32_e32 v3, v1, v3
	s_mul_hi_u32 s1, s18, s1
	s_mul_i32 s3, s1, s6
	s_sub_i32 s2, s18, s3
	s_add_i32 s3, s1, 1
	s_sub_i32 s5, s2, s6
	s_cmp_ge_u32 s2, s6
	v_ashrrev_i32_e32 v4, 3, v3
	s_cselect_b32 s1, s3, s1
	s_cselect_b32 s2, s5, s2
	s_add_i32 s3, s1, 1
	s_cmp_ge_u32 s2, s6
	v_lshlrev_b64 v[2:3], 2, v[1:2]
	s_cselect_b32 s16, s3, s1
	s_mul_i32 s1, s16, s0
	s_ashr_i32 s2, s1, 31
	v_add_nc_u32_e32 v7, s1, v1
	s_lshr_b32 s2, s2, 29
	s_add_i32 s2, s1, s2
	s_lshr_b32 s1, s18, 3
	s_ashr_i32 s2, s2, 3
	v_ashrrev_i32_e32 v8, 31, v7
	v_add_nc_u32_e32 v5, s2, v4
	s_mul_i32 s2, s0, s1
	s_ashr_i32 s3, s2, 31
	v_lshlrev_b64 v[7:8], 1, v[7:8]
	v_ashrrev_i32_e32 v6, 31, v5
	s_lshl_b64 s[2:3], s[2:3], 2
	s_add_u32 s2, s8, s2
	s_addc_u32 s3, s9, s3
	v_lshlrev_b64 v[5:6], 2, v[5:6]
	s_ashr_i32 s1, s0, 31
	s_add_i32 s8, s6, s18
	s_lshl_b64 s[4:5], s[0:1], 2
	s_mov_b32 s9, 0xf000f0
	v_add_co_u32 v5, vcc_lo, s10, v5
	v_add_co_ci_u32_e64 v6, null, s11, v6, vcc_lo
	v_add_co_u32 v7, vcc_lo, s12, v7
	v_add_co_ci_u32_e64 v8, null, s13, v8, vcc_lo
	global_load_dword v15, v[5:6], off
	global_load_dwordx2 v[13:14], v[7:8], off
	v_lshlrev_b32_e32 v8, 4, v0
	v_mov_b32_e32 v0, 0x10001
	v_add_co_u32 v2, vcc_lo, s2, v2
	v_mov_b32_e32 v6, 0
	v_and_b32_e32 v9, 16, v8
	v_mov_b32_e32 v7, 0
	v_mov_b32_e32 v5, 0
	v_add_co_ci_u32_e64 v3, null, s3, v3, vcc_lo
	s_lshl_b64 s[2:3], s[0:1], 4
	s_mov_b32 s1, 0xf000f
	s_waitcnt vmcnt(1)
	v_lshrrev_b32_e32 v8, v8, v15
	v_bfe_u32 v15, v15, v9, 4
	s_waitcnt vmcnt(0)
	v_cvt_f32_f16_e32 v11, v13
	v_cvt_f32_f16_sdwa v12, v13 dst_sel:DWORD dst_unused:UNUSED_PAD src0_sel:WORD_1
	v_cvt_f32_f16_e32 v13, v14
	v_bfe_u32 v16, v8, 12, 4
	v_bfe_u32 v17, v8, 8, 4
	;; [unrolled: 1-line block ×3, first 2 shown]
	v_add_nc_u32_e32 v15, v15, v10
	v_cvt_f32_f16_sdwa v14, v14 dst_sel:DWORD dst_unused:UNUSED_PAD src0_sel:WORD_1
	v_add_nc_u32_e32 v16, v16, v10
	v_add_nc_u32_e32 v17, v17, v10
	;; [unrolled: 1-line block ×3, first 2 shown]
	v_cvt_f32_ubyte0_e32 v18, v15
	v_mad_u32_u24 v15, 0x10001, v15, s20
	v_cvt_f32_ubyte0_e32 v19, v16
	v_cvt_f32_ubyte0_e32 v20, v17
	;; [unrolled: 1-line block ×3, first 2 shown]
	v_cvt_f16_f32_e32 v18, v18
	v_mad_u32_u24 v16, 0x10001, v16, s20
	v_cvt_f16_f32_e32 v19, v19
	v_cvt_f16_f32_e32 v20, v20
	v_cvt_f16_f32_e32 v21, v21
	v_sub_f16_e32 v22, 0xd400, v18
	v_mad_u32_u24 v17, 0x10001, v17, s20
	v_sub_f16_e32 v23, 0xd400, v19
	v_sub_f16_e32 v24, 0xd400, v20
	;; [unrolled: 1-line block ×3, first 2 shown]
	v_mad_u32_u24 v18, 0x10001, v8, s20
	v_mul_u32_u24_sdwa v19, v22, v0 dst_sel:DWORD dst_unused:UNUSED_PAD src0_sel:WORD_0 src1_sel:DWORD
	v_mul_u32_u24_sdwa v20, v23, v0 dst_sel:DWORD dst_unused:UNUSED_PAD src0_sel:WORD_0 src1_sel:DWORD
	;; [unrolled: 1-line block ×4, first 2 shown]
	v_mov_b32_e32 v8, 0
	s_branch .LBB17_8
.LBB17_7:                               ;   in Loop: Header=BB17_8 Depth=1
	global_load_dwordx4 v[23:26], v[2:3], off
	s_add_i32 s18, s18, 32
	s_waitcnt vmcnt(0)
	v_and_or_b32 v27, v23, s1, 0x64006400
	v_and_or_b32 v28, v23, s9, 0x64006400
	v_lshrrev_b32_e32 v23, 8, v23
	v_and_or_b32 v31, v24, s9, 0x64006400
	v_pk_add_f16 v27, v15, v27
	v_pk_fma_f16 v28, 0x2c00, v28, v19 op_sel_hi:[0,1,1]
	v_and_or_b32 v29, v23, s1, 0x64006400
	v_and_or_b32 v23, v23, s9, 0x64006400
	v_pk_fma_f16 v31, 0x2c00, v31, v22 op_sel_hi:[0,1,1]
	v_pk_add_f16 v29, v15, v29
	v_pk_fma_f16 v30, 0x2c00, v23, v19 op_sel_hi:[0,1,1]
	v_and_or_b32 v23, v24, s1, 0x64006400
	v_lshrrev_b32_e32 v24, 8, v24
	v_pk_add_f16 v33, v18, v23
	v_and_or_b32 v32, v24, s1, 0x64006400
	v_and_or_b32 v24, v24, s9, 0x64006400
	;; [unrolled: 1-line block ×3, first 2 shown]
	v_pk_add_f16 v32, v18, v32
	v_pk_fma_f16 v34, 0x2c00, v24, v22 op_sel_hi:[0,1,1]
	v_and_or_b32 v24, v25, s9, 0x64006400
	v_lshrrev_b32_e32 v25, 8, v25
	v_pk_add_f16 v36, v17, v23
	v_and_or_b32 v23, v26, s1, 0x64006400
	v_pk_fma_f16 v37, 0x2c00, v24, v21 op_sel_hi:[0,1,1]
	v_and_or_b32 v35, v25, s1, 0x64006400
	v_and_or_b32 v25, v25, s9, 0x64006400
	;; [unrolled: 1-line block ×3, first 2 shown]
	v_pk_add_f16 v39, v16, v23
	v_mov_b32_e32 v23, s17
	v_pk_add_f16 v35, v17, v35
	v_pk_fma_f16 v38, 0x2c00, v25, v21 op_sel_hi:[0,1,1]
	v_lshrrev_b32_e32 v25, 8, v26
	v_pk_fma_f16 v40, 0x2c00, v24, v20 op_sel_hi:[0,1,1]
	s_add_i32 s17, s17, 64
	s_cmp_ge_i32 s18, s19
	v_and_or_b32 v26, v25, s1, 0x64006400
	v_and_or_b32 v25, v25, s9, 0x64006400
	v_pk_add_f16 v41, v16, v26
	v_pk_fma_f16 v42, 0x2c00, v25, v20 op_sel_hi:[0,1,1]
	ds_read2_b32 v[24:25], v23 offset1:1
	s_waitcnt lgkmcnt(0)
	v_pk_fma_f16 v26, v27, v24, 0
	v_pk_fma_f16 v28, v28, v25, v26
	ds_read2_b32 v[26:27], v23 offset0:2 offset1:3
	s_waitcnt lgkmcnt(0)
	v_pk_fma_f16 v28, v29, v26, v28
	v_pk_fma_f16 v28, v30, v27, v28
	v_cvt_f32_f16_e32 v29, v28
	v_cvt_f32_f16_sdwa v28, v28 dst_sel:DWORD dst_unused:UNUSED_PAD src0_sel:WORD_1
	v_add_f32_e32 v28, v29, v28
	v_pk_fma_f16 v29, v33, v24, 0
	v_fmac_f32_e32 v6, v28, v11
	v_pk_fma_f16 v29, v31, v25, v29
	v_add_co_u32 v28, vcc_lo, v2, s4
	v_pk_fma_f16 v29, v32, v26, v29
	v_pk_fma_f16 v29, v34, v27, v29
	v_cvt_f32_f16_e32 v30, v29
	v_cvt_f32_f16_sdwa v29, v29 dst_sel:DWORD dst_unused:UNUSED_PAD src0_sel:WORD_1
	v_add_f32_e32 v29, v30, v29
	v_pk_fma_f16 v30, v36, v24, 0
	v_pk_fma_f16 v24, v39, v24, 0
	v_fmac_f32_e32 v7, v29, v12
	v_pk_fma_f16 v30, v37, v25, v30
	v_pk_fma_f16 v24, v40, v25, v24
	v_add_co_ci_u32_e64 v29, null, s5, v3, vcc_lo
	v_pk_fma_f16 v30, v35, v26, v30
	v_pk_fma_f16 v24, v41, v26, v24
	;; [unrolled: 1-line block ×4, first 2 shown]
	v_cvt_f32_f16_e32 v31, v30
	v_cvt_f32_f16_e32 v25, v24
	v_cvt_f32_f16_sdwa v24, v24 dst_sel:DWORD dst_unused:UNUSED_PAD src0_sel:WORD_1
	v_cvt_f32_f16_sdwa v30, v30 dst_sel:DWORD dst_unused:UNUSED_PAD src0_sel:WORD_1
	v_add_f32_e32 v24, v25, v24
	v_add_f32_e32 v30, v31, v30
	v_fmac_f32_e32 v8, v24, v14
	global_load_dwordx4 v[24:27], v[28:29], off
	v_fmac_f32_e32 v5, v30, v13
	v_add_co_u32 v28, vcc_lo, v28, s4
	v_add_co_ci_u32_e64 v29, null, s5, v29, vcc_lo
	s_waitcnt vmcnt(0)
	v_and_or_b32 v30, v24, s1, 0x64006400
	v_and_or_b32 v31, v24, s9, 0x64006400
	v_lshrrev_b32_e32 v24, 8, v24
	v_and_or_b32 v34, v25, s9, 0x64006400
	v_pk_add_f16 v30, v15, v30
	v_pk_fma_f16 v31, 0x2c00, v31, v19 op_sel_hi:[0,1,1]
	v_and_or_b32 v32, v24, s1, 0x64006400
	v_and_or_b32 v24, v24, s9, 0x64006400
	v_pk_fma_f16 v34, 0x2c00, v34, v22 op_sel_hi:[0,1,1]
	v_pk_add_f16 v32, v15, v32
	v_pk_fma_f16 v33, 0x2c00, v24, v19 op_sel_hi:[0,1,1]
	v_and_or_b32 v24, v25, s1, 0x64006400
	v_lshrrev_b32_e32 v25, 8, v25
	v_pk_add_f16 v36, v18, v24
	v_and_or_b32 v35, v25, s1, 0x64006400
	v_and_or_b32 v25, v25, s9, 0x64006400
	v_and_or_b32 v24, v26, s1, 0x64006400
	v_pk_add_f16 v35, v18, v35
	v_pk_fma_f16 v37, 0x2c00, v25, v22 op_sel_hi:[0,1,1]
	v_and_or_b32 v25, v26, s9, 0x64006400
	v_pk_add_f16 v39, v17, v24
	v_and_or_b32 v24, v27, s1, 0x64006400
	v_lshrrev_b32_e32 v26, 8, v26
	v_pk_fma_f16 v40, 0x2c00, v25, v21 op_sel_hi:[0,1,1]
	v_and_or_b32 v25, v27, s9, 0x64006400
	v_pk_add_f16 v42, v16, v24
	v_and_or_b32 v38, v26, s1, 0x64006400
	v_and_or_b32 v26, v26, s9, 0x64006400
	v_pk_fma_f16 v43, 0x2c00, v25, v20 op_sel_hi:[0,1,1]
	ds_read2_b32 v[24:25], v23 offset0:4 offset1:5
	v_pk_add_f16 v38, v17, v38
	v_pk_fma_f16 v41, 0x2c00, v26, v21 op_sel_hi:[0,1,1]
	v_lshrrev_b32_e32 v26, 8, v27
	v_and_or_b32 v27, v26, s1, 0x64006400
	v_and_or_b32 v26, v26, s9, 0x64006400
	v_pk_add_f16 v44, v16, v27
	v_pk_fma_f16 v45, 0x2c00, v26, v20 op_sel_hi:[0,1,1]
	s_waitcnt lgkmcnt(0)
	v_pk_fma_f16 v26, v30, v24, 0
	v_pk_fma_f16 v30, v31, v25, v26
	ds_read2_b32 v[26:27], v23 offset0:6 offset1:7
	s_waitcnt lgkmcnt(0)
	v_pk_fma_f16 v30, v32, v26, v30
	v_pk_fma_f16 v30, v33, v27, v30
	v_cvt_f32_f16_e32 v31, v30
	v_cvt_f32_f16_sdwa v30, v30 dst_sel:DWORD dst_unused:UNUSED_PAD src0_sel:WORD_1
	v_add_f32_e32 v30, v31, v30
	v_pk_fma_f16 v31, v36, v24, 0
	v_fmac_f32_e32 v6, v30, v11
	v_pk_fma_f16 v31, v34, v25, v31
	v_pk_fma_f16 v31, v35, v26, v31
	;; [unrolled: 1-line block ×3, first 2 shown]
	v_cvt_f32_f16_e32 v32, v31
	v_cvt_f32_f16_sdwa v31, v31 dst_sel:DWORD dst_unused:UNUSED_PAD src0_sel:WORD_1
	v_add_f32_e32 v31, v32, v31
	v_pk_fma_f16 v32, v39, v24, 0
	v_pk_fma_f16 v24, v42, v24, 0
	v_fmac_f32_e32 v7, v31, v12
	v_pk_fma_f16 v32, v40, v25, v32
	v_pk_fma_f16 v24, v43, v25, v24
	;; [unrolled: 1-line block ×6, first 2 shown]
	v_cvt_f32_f16_e32 v33, v32
	v_cvt_f32_f16_e32 v25, v24
	v_cvt_f32_f16_sdwa v24, v24 dst_sel:DWORD dst_unused:UNUSED_PAD src0_sel:WORD_1
	v_cvt_f32_f16_sdwa v32, v32 dst_sel:DWORD dst_unused:UNUSED_PAD src0_sel:WORD_1
	v_add_f32_e32 v24, v25, v24
	v_add_f32_e32 v32, v33, v32
	v_fmac_f32_e32 v8, v24, v14
	global_load_dwordx4 v[24:27], v[28:29], off
	v_fmac_f32_e32 v5, v32, v13
	s_waitcnt vmcnt(0)
	v_and_or_b32 v30, v24, s1, 0x64006400
	v_and_or_b32 v31, v24, s9, 0x64006400
	v_lshrrev_b32_e32 v24, 8, v24
	v_and_or_b32 v34, v25, s9, 0x64006400
	v_pk_add_f16 v30, v15, v30
	v_pk_fma_f16 v31, 0x2c00, v31, v19 op_sel_hi:[0,1,1]
	v_and_or_b32 v32, v24, s1, 0x64006400
	v_and_or_b32 v24, v24, s9, 0x64006400
	v_pk_fma_f16 v34, 0x2c00, v34, v22 op_sel_hi:[0,1,1]
	v_pk_add_f16 v32, v15, v32
	v_pk_fma_f16 v33, 0x2c00, v24, v19 op_sel_hi:[0,1,1]
	v_and_or_b32 v24, v25, s1, 0x64006400
	v_lshrrev_b32_e32 v25, 8, v25
	v_pk_add_f16 v36, v18, v24
	v_and_or_b32 v35, v25, s1, 0x64006400
	v_and_or_b32 v25, v25, s9, 0x64006400
	;; [unrolled: 1-line block ×3, first 2 shown]
	v_pk_add_f16 v35, v18, v35
	v_pk_fma_f16 v37, 0x2c00, v25, v22 op_sel_hi:[0,1,1]
	v_and_or_b32 v25, v26, s9, 0x64006400
	v_pk_add_f16 v39, v17, v24
	v_and_or_b32 v24, v27, s1, 0x64006400
	v_lshrrev_b32_e32 v26, 8, v26
	v_pk_fma_f16 v40, 0x2c00, v25, v21 op_sel_hi:[0,1,1]
	v_and_or_b32 v25, v27, s9, 0x64006400
	v_pk_add_f16 v42, v16, v24
	v_and_or_b32 v38, v26, s1, 0x64006400
	v_and_or_b32 v26, v26, s9, 0x64006400
	v_pk_fma_f16 v43, 0x2c00, v25, v20 op_sel_hi:[0,1,1]
	ds_read2_b32 v[24:25], v23 offset0:8 offset1:9
	v_pk_add_f16 v38, v17, v38
	v_pk_fma_f16 v41, 0x2c00, v26, v21 op_sel_hi:[0,1,1]
	v_lshrrev_b32_e32 v26, 8, v27
	v_and_or_b32 v27, v26, s1, 0x64006400
	v_and_or_b32 v26, v26, s9, 0x64006400
	v_pk_add_f16 v44, v16, v27
	v_pk_fma_f16 v45, 0x2c00, v26, v20 op_sel_hi:[0,1,1]
	s_waitcnt lgkmcnt(0)
	v_pk_fma_f16 v26, v30, v24, 0
	v_pk_fma_f16 v30, v31, v25, v26
	ds_read2_b32 v[26:27], v23 offset0:10 offset1:11
	s_waitcnt lgkmcnt(0)
	v_pk_fma_f16 v30, v32, v26, v30
	v_pk_fma_f16 v30, v33, v27, v30
	v_cvt_f32_f16_e32 v31, v30
	v_cvt_f32_f16_sdwa v30, v30 dst_sel:DWORD dst_unused:UNUSED_PAD src0_sel:WORD_1
	v_add_f32_e32 v30, v31, v30
	v_pk_fma_f16 v31, v36, v24, 0
	v_fmac_f32_e32 v6, v30, v11
	v_pk_fma_f16 v31, v34, v25, v31
	v_pk_fma_f16 v31, v35, v26, v31
	;; [unrolled: 1-line block ×3, first 2 shown]
	v_cvt_f32_f16_e32 v32, v31
	v_cvt_f32_f16_sdwa v31, v31 dst_sel:DWORD dst_unused:UNUSED_PAD src0_sel:WORD_1
	v_add_f32_e32 v31, v32, v31
	v_pk_fma_f16 v32, v39, v24, 0
	v_pk_fma_f16 v24, v42, v24, 0
	v_fmac_f32_e32 v7, v31, v12
	v_pk_fma_f16 v32, v40, v25, v32
	v_pk_fma_f16 v24, v43, v25, v24
	;; [unrolled: 1-line block ×6, first 2 shown]
	v_cvt_f32_f16_e32 v33, v32
	v_cvt_f32_f16_e32 v25, v24
	v_cvt_f32_f16_sdwa v24, v24 dst_sel:DWORD dst_unused:UNUSED_PAD src0_sel:WORD_1
	v_cvt_f32_f16_sdwa v32, v32 dst_sel:DWORD dst_unused:UNUSED_PAD src0_sel:WORD_1
	v_add_f32_e32 v24, v25, v24
	v_add_f32_e32 v32, v33, v32
	v_fmac_f32_e32 v8, v24, v14
	v_add_co_u32 v24, vcc_lo, v28, s4
	v_add_co_ci_u32_e64 v25, null, s5, v29, vcc_lo
	v_fmac_f32_e32 v5, v32, v13
	v_add_co_u32 v2, vcc_lo, v2, s2
	global_load_dwordx4 v[24:27], v[24:25], off
	v_add_co_ci_u32_e64 v3, null, s3, v3, vcc_lo
	s_waitcnt vmcnt(0)
	v_and_or_b32 v28, v24, s1, 0x64006400
	v_and_or_b32 v29, v24, s9, 0x64006400
	v_lshrrev_b32_e32 v24, 8, v24
	v_and_or_b32 v32, v25, s9, 0x64006400
	v_pk_add_f16 v28, v15, v28
	v_pk_fma_f16 v29, 0x2c00, v29, v19 op_sel_hi:[0,1,1]
	v_and_or_b32 v30, v24, s1, 0x64006400
	v_and_or_b32 v24, v24, s9, 0x64006400
	v_pk_fma_f16 v32, 0x2c00, v32, v22 op_sel_hi:[0,1,1]
	v_pk_add_f16 v30, v15, v30
	v_pk_fma_f16 v31, 0x2c00, v24, v19 op_sel_hi:[0,1,1]
	v_and_or_b32 v24, v25, s1, 0x64006400
	v_lshrrev_b32_e32 v25, 8, v25
	v_pk_add_f16 v34, v18, v24
	v_and_or_b32 v33, v25, s1, 0x64006400
	v_and_or_b32 v25, v25, s9, 0x64006400
	;; [unrolled: 1-line block ×3, first 2 shown]
	v_pk_add_f16 v33, v18, v33
	v_pk_fma_f16 v35, 0x2c00, v25, v22 op_sel_hi:[0,1,1]
	v_and_or_b32 v25, v26, s9, 0x64006400
	v_pk_add_f16 v37, v17, v24
	v_and_or_b32 v24, v27, s1, 0x64006400
	v_lshrrev_b32_e32 v26, 8, v26
	v_pk_fma_f16 v38, 0x2c00, v25, v21 op_sel_hi:[0,1,1]
	v_and_or_b32 v25, v27, s9, 0x64006400
	v_pk_add_f16 v40, v16, v24
	v_and_or_b32 v36, v26, s1, 0x64006400
	v_and_or_b32 v26, v26, s9, 0x64006400
	v_pk_fma_f16 v41, 0x2c00, v25, v20 op_sel_hi:[0,1,1]
	ds_read2_b32 v[24:25], v23 offset0:12 offset1:13
	v_pk_add_f16 v36, v17, v36
	v_pk_fma_f16 v39, 0x2c00, v26, v21 op_sel_hi:[0,1,1]
	v_lshrrev_b32_e32 v26, 8, v27
	v_and_or_b32 v27, v26, s1, 0x64006400
	v_and_or_b32 v26, v26, s9, 0x64006400
	v_pk_add_f16 v42, v16, v27
	v_pk_fma_f16 v43, 0x2c00, v26, v20 op_sel_hi:[0,1,1]
	s_waitcnt lgkmcnt(0)
	v_pk_fma_f16 v26, v28, v24, 0
	v_pk_fma_f16 v28, v29, v25, v26
	ds_read2_b32 v[26:27], v23 offset0:14 offset1:15
	s_waitcnt lgkmcnt(0)
	v_pk_fma_f16 v23, v30, v26, v28
	v_pk_fma_f16 v23, v31, v27, v23
	v_cvt_f32_f16_e32 v28, v23
	v_cvt_f32_f16_sdwa v23, v23 dst_sel:DWORD dst_unused:UNUSED_PAD src0_sel:WORD_1
	v_add_f32_e32 v23, v28, v23
	v_pk_fma_f16 v28, v34, v24, 0
	v_fmac_f32_e32 v6, v23, v11
	v_pk_fma_f16 v28, v32, v25, v28
	v_pk_fma_f16 v28, v33, v26, v28
	;; [unrolled: 1-line block ×3, first 2 shown]
	v_cvt_f32_f16_e32 v29, v28
	v_cvt_f32_f16_sdwa v28, v28 dst_sel:DWORD dst_unused:UNUSED_PAD src0_sel:WORD_1
	v_add_f32_e32 v28, v29, v28
	v_pk_fma_f16 v29, v37, v24, 0
	v_pk_fma_f16 v24, v40, v24, 0
	v_fmac_f32_e32 v7, v28, v12
	v_pk_fma_f16 v29, v38, v25, v29
	v_pk_fma_f16 v24, v41, v25, v24
	;; [unrolled: 1-line block ×6, first 2 shown]
	v_cvt_f32_f16_e32 v30, v29
	v_cvt_f32_f16_sdwa v29, v29 dst_sel:DWORD dst_unused:UNUSED_PAD src0_sel:WORD_1
	v_cvt_f32_f16_e32 v25, v24
	v_cvt_f32_f16_sdwa v24, v24 dst_sel:DWORD dst_unused:UNUSED_PAD src0_sel:WORD_1
	v_add_f32_e32 v29, v30, v29
	v_add_f32_e32 v24, v25, v24
	v_fmac_f32_e32 v5, v29, v13
	v_fmac_f32_e32 v8, v24, v14
	s_cbranch_scc1 .LBB17_10
.LBB17_8:                               ; =>This Inner Loop Header: Depth=1
	s_cmp_lg_u32 s18, s8
	s_cbranch_scc1 .LBB17_7
; %bb.9:                                ;   in Loop: Header=BB17_8 Depth=1
	s_add_i32 s16, s16, 1
	s_add_i32 s8, s8, s6
	s_mul_i32 s21, s16, s0
	s_ashr_i32 s22, s21, 31
	v_add_nc_u32_e32 v13, s21, v1
	s_lshr_b32 s22, s22, 29
	s_add_i32 s22, s21, s22
	v_ashrrev_i32_e32 v14, 31, v13
	s_ashr_i32 s22, s22, 3
	v_add_nc_u32_e32 v11, s22, v4
	v_lshlrev_b64 v[13:14], 1, v[13:14]
	v_ashrrev_i32_e32 v12, 31, v11
	v_lshlrev_b64 v[11:12], 2, v[11:12]
	v_add_co_u32 v11, vcc_lo, s10, v11
	v_add_co_ci_u32_e64 v12, null, s11, v12, vcc_lo
	v_add_co_u32 v13, vcc_lo, s12, v13
	v_add_co_ci_u32_e64 v14, null, s13, v14, vcc_lo
	global_load_dword v15, v[11:12], off
	global_load_dwordx2 v[13:14], v[13:14], off
	s_waitcnt vmcnt(1)
	v_lshrrev_b32_e32 v16, v9, v15
	v_bfe_u32 v15, v15, v9, 4
	s_waitcnt vmcnt(0)
	v_cvt_f32_f16_e32 v11, v13
	v_cvt_f32_f16_sdwa v12, v13 dst_sel:DWORD dst_unused:UNUSED_PAD src0_sel:WORD_1
	v_cvt_f32_f16_e32 v13, v14
	v_bfe_u32 v17, v16, 4, 4
	v_bfe_u32 v18, v16, 8, 4
	;; [unrolled: 1-line block ×3, first 2 shown]
	v_add_nc_u32_e32 v15, v15, v10
	v_cvt_f32_f16_sdwa v14, v14 dst_sel:DWORD dst_unused:UNUSED_PAD src0_sel:WORD_1
	v_add_nc_u32_e32 v17, v17, v10
	v_add_nc_u32_e32 v19, v18, v10
	;; [unrolled: 1-line block ×3, first 2 shown]
	v_cvt_f32_ubyte0_e32 v18, v15
	v_mad_u32_u24 v15, 0x10001, v15, s20
	v_cvt_f32_ubyte0_e32 v20, v17
	v_cvt_f32_ubyte0_e32 v21, v19
	;; [unrolled: 1-line block ×3, first 2 shown]
	v_cvt_f16_f32_e32 v23, v18
	v_mad_u32_u24 v18, 0x10001, v17, s20
	v_cvt_f16_f32_e32 v20, v20
	v_cvt_f16_f32_e32 v21, v21
	;; [unrolled: 1-line block ×3, first 2 shown]
	v_mad_u32_u24 v17, 0x10001, v19, s20
	v_sub_f16_e32 v19, 0xd400, v23
	v_sub_f16_e32 v20, 0xd400, v20
	v_sub_f16_e32 v21, 0xd400, v21
	v_sub_f16_e32 v23, 0xd400, v22
	v_mad_u32_u24 v16, 0x10001, v16, s20
	v_mul_u32_u24_sdwa v19, v19, v0 dst_sel:DWORD dst_unused:UNUSED_PAD src0_sel:WORD_0 src1_sel:DWORD
	v_mul_u32_u24_sdwa v22, v20, v0 dst_sel:DWORD dst_unused:UNUSED_PAD src0_sel:WORD_0 src1_sel:DWORD
	;; [unrolled: 1-line block ×4, first 2 shown]
	s_branch .LBB17_7
.LBB17_10:
	v_mad_u64_u32 v[0:1], null, s0, s7, v[1:2]
	v_cvt_f16_f32_e32 v2, v6
	v_cvt_f16_f32_e32 v4, v7
	s_mov_b32 s0, 0
	v_pack_b32_f16 v4, v2, v4
	v_ashrrev_i32_e32 v1, 31, v0
	v_lshlrev_b64 v[0:1], 1, v[0:1]
	v_add_co_u32 v0, vcc_lo, s14, v0
	v_add_co_ci_u32_e64 v1, null, s15, v1, vcc_lo
	global_load_dword v3, v[0:1], off
.LBB17_11:                              ; =>This Inner Loop Header: Depth=1
	s_waitcnt vmcnt(0)
	v_pk_add_f16 v2, v4, v3
	global_atomic_cmpswap v2, v[0:1], v[2:3], off glc
	s_waitcnt vmcnt(0)
	v_cmp_eq_u32_e32 vcc_lo, v3, v2
	v_mov_b32_e32 v3, v2
	s_or_b32 s0, vcc_lo, s0
	s_andn2_b32 exec_lo, exec_lo, s0
	s_cbranch_execnz .LBB17_11
; %bb.12:
	s_or_b32 exec_lo, exec_lo, s0
	global_load_dword v3, v[0:1], off offset:4
	v_cvt_f16_f32_e32 v2, v5
	v_cvt_f16_f32_e32 v4, v8
	s_mov_b32 s0, 0
	v_pack_b32_f16 v4, v2, v4
.LBB17_13:                              ; =>This Inner Loop Header: Depth=1
	s_waitcnt vmcnt(0)
	v_pk_add_f16 v2, v4, v3
	global_atomic_cmpswap v2, v[0:1], v[2:3], off offset:4 glc
	s_waitcnt vmcnt(0)
	v_cmp_eq_u32_e32 vcc_lo, v3, v2
	v_mov_b32_e32 v3, v2
	s_or_b32 s0, vcc_lo, s0
	s_andn2_b32 exec_lo, exec_lo, s0
	s_cbranch_execnz .LBB17_13
.LBB17_14:
	s_endpgm
	.section	.rodata,"a",@progbits
	.p2align	6, 0x0
	.amdhsa_kernel _ZN4vllm4gptq33gemm_half_q_half_gptq_4bit_kernelILb1ELi1EEEvPK6__halfPKjS6_S4_PS2_iiiibPKi
		.amdhsa_group_segment_fixed_size 256
		.amdhsa_private_segment_fixed_size 0
		.amdhsa_kernarg_size 72
		.amdhsa_user_sgpr_count 6
		.amdhsa_user_sgpr_private_segment_buffer 1
		.amdhsa_user_sgpr_dispatch_ptr 0
		.amdhsa_user_sgpr_queue_ptr 0
		.amdhsa_user_sgpr_kernarg_segment_ptr 1
		.amdhsa_user_sgpr_dispatch_id 0
		.amdhsa_user_sgpr_flat_scratch_init 0
		.amdhsa_user_sgpr_private_segment_size 0
		.amdhsa_wavefront_size32 1
		.amdhsa_uses_dynamic_stack 0
		.amdhsa_system_sgpr_private_segment_wavefront_offset 0
		.amdhsa_system_sgpr_workgroup_id_x 1
		.amdhsa_system_sgpr_workgroup_id_y 1
		.amdhsa_system_sgpr_workgroup_id_z 1
		.amdhsa_system_sgpr_workgroup_info 0
		.amdhsa_system_vgpr_workitem_id 0
		.amdhsa_next_free_vgpr 46
		.amdhsa_next_free_sgpr 23
		.amdhsa_reserve_vcc 1
		.amdhsa_reserve_flat_scratch 0
		.amdhsa_float_round_mode_32 0
		.amdhsa_float_round_mode_16_64 0
		.amdhsa_float_denorm_mode_32 3
		.amdhsa_float_denorm_mode_16_64 3
		.amdhsa_dx10_clamp 1
		.amdhsa_ieee_mode 1
		.amdhsa_fp16_overflow 0
		.amdhsa_workgroup_processor_mode 1
		.amdhsa_memory_ordered 1
		.amdhsa_forward_progress 1
		.amdhsa_shared_vgpr_count 0
		.amdhsa_exception_fp_ieee_invalid_op 0
		.amdhsa_exception_fp_denorm_src 0
		.amdhsa_exception_fp_ieee_div_zero 0
		.amdhsa_exception_fp_ieee_overflow 0
		.amdhsa_exception_fp_ieee_underflow 0
		.amdhsa_exception_fp_ieee_inexact 0
		.amdhsa_exception_int_div_zero 0
	.end_amdhsa_kernel
	.section	.text._ZN4vllm4gptq33gemm_half_q_half_gptq_4bit_kernelILb1ELi1EEEvPK6__halfPKjS6_S4_PS2_iiiibPKi,"axG",@progbits,_ZN4vllm4gptq33gemm_half_q_half_gptq_4bit_kernelILb1ELi1EEEvPK6__halfPKjS6_S4_PS2_iiiibPKi,comdat
.Lfunc_end17:
	.size	_ZN4vllm4gptq33gemm_half_q_half_gptq_4bit_kernelILb1ELi1EEEvPK6__halfPKjS6_S4_PS2_iiiibPKi, .Lfunc_end17-_ZN4vllm4gptq33gemm_half_q_half_gptq_4bit_kernelILb1ELi1EEEvPK6__halfPKjS6_S4_PS2_iiiibPKi
                                        ; -- End function
	.set _ZN4vllm4gptq33gemm_half_q_half_gptq_4bit_kernelILb1ELi1EEEvPK6__halfPKjS6_S4_PS2_iiiibPKi.num_vgpr, 46
	.set _ZN4vllm4gptq33gemm_half_q_half_gptq_4bit_kernelILb1ELi1EEEvPK6__halfPKjS6_S4_PS2_iiiibPKi.num_agpr, 0
	.set _ZN4vllm4gptq33gemm_half_q_half_gptq_4bit_kernelILb1ELi1EEEvPK6__halfPKjS6_S4_PS2_iiiibPKi.numbered_sgpr, 23
	.set _ZN4vllm4gptq33gemm_half_q_half_gptq_4bit_kernelILb1ELi1EEEvPK6__halfPKjS6_S4_PS2_iiiibPKi.num_named_barrier, 0
	.set _ZN4vllm4gptq33gemm_half_q_half_gptq_4bit_kernelILb1ELi1EEEvPK6__halfPKjS6_S4_PS2_iiiibPKi.private_seg_size, 0
	.set _ZN4vllm4gptq33gemm_half_q_half_gptq_4bit_kernelILb1ELi1EEEvPK6__halfPKjS6_S4_PS2_iiiibPKi.uses_vcc, 1
	.set _ZN4vllm4gptq33gemm_half_q_half_gptq_4bit_kernelILb1ELi1EEEvPK6__halfPKjS6_S4_PS2_iiiibPKi.uses_flat_scratch, 0
	.set _ZN4vllm4gptq33gemm_half_q_half_gptq_4bit_kernelILb1ELi1EEEvPK6__halfPKjS6_S4_PS2_iiiibPKi.has_dyn_sized_stack, 0
	.set _ZN4vllm4gptq33gemm_half_q_half_gptq_4bit_kernelILb1ELi1EEEvPK6__halfPKjS6_S4_PS2_iiiibPKi.has_recursion, 0
	.set _ZN4vllm4gptq33gemm_half_q_half_gptq_4bit_kernelILb1ELi1EEEvPK6__halfPKjS6_S4_PS2_iiiibPKi.has_indirect_call, 0
	.section	.AMDGPU.csdata,"",@progbits
; Kernel info:
; codeLenInByte = 4048
; TotalNumSgprs: 25
; NumVgprs: 46
; ScratchSize: 0
; MemoryBound: 0
; FloatMode: 240
; IeeeMode: 1
; LDSByteSize: 256 bytes/workgroup (compile time only)
; SGPRBlocks: 0
; VGPRBlocks: 5
; NumSGPRsForWavesPerEU: 25
; NumVGPRsForWavesPerEU: 46
; Occupancy: 16
; WaveLimiterHint : 0
; COMPUTE_PGM_RSRC2:SCRATCH_EN: 0
; COMPUTE_PGM_RSRC2:USER_SGPR: 6
; COMPUTE_PGM_RSRC2:TRAP_HANDLER: 0
; COMPUTE_PGM_RSRC2:TGID_X_EN: 1
; COMPUTE_PGM_RSRC2:TGID_Y_EN: 1
; COMPUTE_PGM_RSRC2:TGID_Z_EN: 1
; COMPUTE_PGM_RSRC2:TIDIG_COMP_CNT: 0
	.section	.text._ZN4vllm4gptq33gemm_half_q_half_gptq_8bit_kernelILb1ELi1EEEvPK6__halfPKjS6_S4_PS2_iiiibPKi,"axG",@progbits,_ZN4vllm4gptq33gemm_half_q_half_gptq_8bit_kernelILb1ELi1EEEvPK6__halfPKjS6_S4_PS2_iiiibPKi,comdat
	.protected	_ZN4vllm4gptq33gemm_half_q_half_gptq_8bit_kernelILb1ELi1EEEvPK6__halfPKjS6_S4_PS2_iiiibPKi ; -- Begin function _ZN4vllm4gptq33gemm_half_q_half_gptq_8bit_kernelILb1ELi1EEEvPK6__halfPKjS6_S4_PS2_iiiibPKi
	.globl	_ZN4vllm4gptq33gemm_half_q_half_gptq_8bit_kernelILb1ELi1EEEvPK6__halfPKjS6_S4_PS2_iiiibPKi
	.p2align	8
	.type	_ZN4vllm4gptq33gemm_half_q_half_gptq_8bit_kernelILb1ELi1EEEvPK6__halfPKjS6_S4_PS2_iiiibPKi,@function
_ZN4vllm4gptq33gemm_half_q_half_gptq_8bit_kernelILb1ELi1EEEvPK6__halfPKjS6_S4_PS2_iiiibPKi: ; @_ZN4vllm4gptq33gemm_half_q_half_gptq_8bit_kernelILb1ELi1EEEvPK6__halfPKjS6_S4_PS2_iiiibPKi
; %bb.0:
	s_load_dwordx4 s[0:3], s[4:5], 0x2c
	s_lshl_b32 s18, s8, 7
	s_mov_b32 s20, exec_lo
	s_add_i32 s8, s18, 0x80
	v_cvt_f64_u32_e32 v[1:2], s8
	s_load_dwordx8 s[8:15], s[4:5], 0x8
	s_waitcnt lgkmcnt(0)
	v_cvt_f64_i32_e32 v[3:4], s1
	v_min_f64 v[1:2], v[1:2], v[3:4]
	v_cvt_i32_f64_e32 v2, v[1:2]
	v_add_nc_u32_e32 v1, s18, v0
	v_readfirstlane_b32 s19, v2
	v_cmpx_lt_u32_e64 v1, v2
	s_cbranch_execz .LBB18_4
; %bb.1:
	s_clause 0x1
	s_load_dwordx2 s[16:17], s[4:5], 0x40
	s_load_dwordx2 s[4:5], s[4:5], 0x0
	v_mov_b32_e32 v2, 0
	s_waitcnt lgkmcnt(0)
	s_cmp_eq_u64 s[16:17], 0
	s_cbranch_scc1 .LBB18_3
; %bb.2:
	v_lshlrev_b64 v[1:2], 2, v[1:2]
	v_add_co_u32 v1, vcc_lo, s16, v1
	v_add_co_ci_u32_e64 v2, null, s17, v2, vcc_lo
	global_load_dword v1, v[1:2], off
	s_waitcnt vmcnt(0)
	v_ashrrev_i32_e32 v2, 31, v1
.LBB18_3:
	s_mul_i32 s16, s1, s7
	v_lshlrev_b64 v[1:2], 1, v[1:2]
	s_ashr_i32 s17, s16, 31
	s_lshl_b64 s[16:17], s[16:17], 1
	s_add_u32 s4, s4, s16
	s_addc_u32 s5, s5, s17
	v_add_co_u32 v1, vcc_lo, s4, v1
	v_add_co_ci_u32_e64 v2, null, s5, v2, vcc_lo
	global_load_ushort v1, v[1:2], off
	v_lshlrev_b32_e32 v2, 1, v0
	s_waitcnt vmcnt(0)
	ds_write_b16 v2, v1
.LBB18_4:
	s_or_b32 exec_lo, exec_lo, s20
	v_lshlrev_b32_e32 v0, 2, v0
	s_mov_b32 s4, exec_lo
	v_lshl_add_u32 v15, s6, 9, v0
	v_cmpx_gt_i32_e64 s0, v15
	s_cbranch_execz .LBB18_16
; %bb.5:
	s_abs_i32 s4, s2
	s_cmp_ge_i32 s18, s19
	v_cvt_f32_u32_e32 v0, s4
	s_mov_b32 s6, 0
	s_waitcnt lgkmcnt(0)
	s_barrier
	buffer_gl0_inv
	v_rcp_iflag_f32_e32 v0, v0
	v_mul_f32_e32 v0, 0x4f7ffffe, v0
	v_cvt_u32_f32_e32 v0, v0
	v_readfirstlane_b32 s5, v0
	s_cbranch_scc1 .LBB18_10
; %bb.6:
	s_sub_i32 s16, 0, s4
	s_abs_i32 s17, s1
	s_mul_i32 s16, s16, s5
	s_ashr_i32 s1, s1, 31
	s_mul_hi_u32 s16, s5, s16
	s_ashr_i32 s2, s2, 31
	s_add_i32 s5, s5, s16
	s_xor_b32 s1, s1, s2
	s_mul_hi_u32 s5, s17, s5
	v_ashrrev_i32_e32 v21, 2, v15
	s_mul_i32 s16, s5, s4
	v_ashrrev_i32_e32 v16, 31, v15
	s_sub_i32 s2, s17, s16
	s_add_i32 s16, s5, 1
	s_sub_i32 s17, s2, s4
	s_cmp_ge_u32 s2, s4
	v_mov_b32_e32 v6, 0
	s_cselect_b32 s5, s16, s5
	s_cselect_b32 s2, s17, s2
	s_add_i32 s16, s5, 1
	s_cmp_ge_u32 s2, s4
	v_mov_b32_e32 v7, 0
	s_cselect_b32 s2, s16, s5
	v_mov_b32_e32 v8, 0
	s_xor_b32 s2, s2, s1
	v_mov_b32_e32 v9, 0
	s_sub_i32 s16, s2, s1
	s_bitcmp1_b32 s3, 0
	v_cvt_f32_u32_e32 v0, s16
	s_cselect_b32 s2, -1, 0
	s_sub_i32 s3, 0, s16
	s_xor_b32 s4, s2, -1
	v_rcp_iflag_f32_e32 v0, v0
	v_mul_f32_e32 v0, 0x4f7ffffe, v0
	v_cvt_u32_f32_e32 v0, v0
	v_readfirstlane_b32 s1, v0
	s_mul_i32 s3, s3, s1
	s_mul_hi_u32 s3, s1, s3
	s_add_i32 s1, s1, s3
	s_mul_hi_u32 s1, s18, s1
	s_mul_i32 s3, s1, s16
	s_sub_i32 s2, s18, s3
	s_add_i32 s3, s1, 1
	s_sub_i32 s5, s2, s16
	s_cmp_ge_u32 s2, s16
	s_cselect_b32 s1, s3, s1
	s_cselect_b32 s2, s5, s2
	s_add_i32 s3, s1, 1
	s_cmp_ge_u32 s2, s16
	s_cselect_b32 s17, s3, s1
	s_mul_i32 s1, s17, s0
	s_ashr_i32 s2, s1, 31
	v_add_nc_u32_e32 v2, s1, v15
	s_lshr_b32 s2, s2, 30
	s_add_i32 s2, s1, s2
	s_lshr_b32 s1, s18, 2
	s_ashr_i32 s2, s2, 2
	v_ashrrev_i32_e32 v3, 31, v2
	v_add_nc_u32_e32 v0, s2, v21
	s_mul_i32 s2, s0, s1
	s_ashr_i32 s3, s2, 31
	v_lshlrev_b64 v[2:3], 1, v[2:3]
	v_ashrrev_i32_e32 v1, 31, v0
	s_lshl_b64 s[2:3], s[2:3], 2
	s_add_u32 s2, s8, s2
	s_addc_u32 s3, s9, s3
	v_lshlrev_b64 v[0:1], 2, v[0:1]
	s_ashr_i32 s1, s0, 31
	s_add_i32 s8, s16, s18
	v_add_co_u32 v0, vcc_lo, s10, v0
	v_add_co_ci_u32_e64 v1, null, s11, v1, vcc_lo
	global_load_dword v4, v[0:1], off
	v_add_co_u32 v0, vcc_lo, s12, v2
	v_add_co_ci_u32_e64 v1, null, s13, v3, vcc_lo
	global_load_dwordx2 v[17:18], v[0:1], off
	v_lshlrev_b64 v[0:1], 2, v[15:16]
	v_cndmask_b32_e64 v16, 0, 1, s4
	s_lshl_b64 s[4:5], s[0:1], 2
	v_add_co_u32 v19, vcc_lo, s2, v0
	v_add_co_ci_u32_e64 v20, null, s3, v1, vcc_lo
	s_lshl_b64 s[2:3], s[0:1], 5
	s_waitcnt vmcnt(1)
	v_and_b32_e32 v22, 0xff, v4
	v_bfe_u32 v23, v4, 8, 8
	v_bfe_u32 v24, v4, 16, 8
	v_lshrrev_b32_e32 v25, 24, v4
	s_branch .LBB18_8
.LBB18_7:                               ;   in Loop: Header=BB18_8 Depth=1
	global_load_dwordx4 v[2:5], v[19:20], off
	v_add_co_u32 v0, vcc_lo, v19, s4
	v_add_co_ci_u32_e64 v1, null, s5, v20, vcc_lo
	v_add_nc_u32_e32 v29, v22, v16
	v_add_nc_u32_e32 v28, v23, v16
	;; [unrolled: 1-line block ×3, first 2 shown]
	global_load_dwordx4 v[10:13], v[0:1], off
	v_add_nc_u32_e32 v26, v25, v16
	v_add_co_u32 v0, vcc_lo, v0, s4
	v_add_co_ci_u32_e64 v1, null, s5, v1, vcc_lo
	s_add_i32 s18, s18, 32
	s_waitcnt vmcnt(1)
	v_sub_nc_u32_sdwa v30, v2, v29 dst_sel:DWORD dst_unused:UNUSED_PAD src0_sel:BYTE_0 src1_sel:DWORD
	v_sub_nc_u32_sdwa v68, v2, v29 dst_sel:DWORD dst_unused:UNUSED_PAD src0_sel:BYTE_1 src1_sel:DWORD
	v_sub_nc_u32_sdwa v56, v2, v29 dst_sel:DWORD dst_unused:UNUSED_PAD src0_sel:BYTE_2 src1_sel:DWORD
	v_sub_nc_u32_sdwa v66, v3, v28 dst_sel:DWORD dst_unused:UNUSED_PAD src0_sel:BYTE_0 src1_sel:DWORD
	v_sub_nc_u32_sdwa v42, v2, v29 dst_sel:DWORD dst_unused:UNUSED_PAD src0_sel:BYTE_3 src1_sel:DWORD
	v_cvt_f32_i32_e32 v30, v30
	v_cvt_f32_i32_e32 v68, v68
	v_sub_nc_u32_sdwa v67, v3, v28 dst_sel:DWORD dst_unused:UNUSED_PAD src0_sel:BYTE_1 src1_sel:DWORD
	v_cvt_f32_i32_e32 v66, v66
	v_cvt_f32_i32_e32 v56, v56
	v_cvt_f16_f32_e32 v72, v30
	v_mov_b32_e32 v30, s6
	v_cvt_f16_f32_e32 v73, v68
	v_sub_nc_u32_sdwa v57, v3, v28 dst_sel:DWORD dst_unused:UNUSED_PAD src0_sel:BYTE_2 src1_sel:DWORD
	v_sub_nc_u32_sdwa v64, v4, v27 dst_sel:DWORD dst_unused:UNUSED_PAD src0_sel:BYTE_0 src1_sel:DWORD
	s_waitcnt vmcnt(0)
	v_sub_nc_u32_sdwa v43, v10, v29 dst_sel:DWORD dst_unused:UNUSED_PAD src0_sel:BYTE_0 src1_sel:DWORD
	ds_read_b128 v[68:71], v30
	v_cvt_f32_i32_e32 v67, v67
	v_cvt_f16_f32_e32 v66, v66
	v_cvt_f16_f32_e32 v56, v56
	v_cvt_f32_i32_e32 v42, v42
	v_sub_nc_u32_sdwa v60, v5, v26 dst_sel:DWORD dst_unused:UNUSED_PAD src0_sel:BYTE_0 src1_sel:DWORD
	v_sub_nc_u32_sdwa v46, v3, v28 dst_sel:DWORD dst_unused:UNUSED_PAD src0_sel:BYTE_3 src1_sel:DWORD
	v_sub_nc_u32_sdwa v65, v4, v27 dst_sel:DWORD dst_unused:UNUSED_PAD src0_sel:BYTE_1 src1_sel:DWORD
	v_cvt_f16_f32_e32 v67, v67
	v_cvt_f32_i32_e32 v64, v64
	v_cvt_f32_i32_e32 v57, v57
	v_cvt_f16_f32_e32 v42, v42
	v_cvt_f32_i32_e32 v43, v43
	v_sub_nc_u32_sdwa v63, v5, v26 dst_sel:DWORD dst_unused:UNUSED_PAD src0_sel:BYTE_1 src1_sel:DWORD
	v_cvt_f32_i32_e32 v60, v60
	v_sub_nc_u32_sdwa v58, v4, v27 dst_sel:DWORD dst_unused:UNUSED_PAD src0_sel:BYTE_2 src1_sel:DWORD
	v_sub_nc_u32_sdwa v47, v11, v28 dst_sel:DWORD dst_unused:UNUSED_PAD src0_sel:BYTE_0 src1_sel:DWORD
	v_cvt_f32_i32_e32 v65, v65
	v_cvt_f16_f32_e32 v64, v64
	v_cvt_f16_f32_e32 v57, v57
	s_waitcnt lgkmcnt(0)
	v_fma_mix_f32 v72, v72, v68, 0 op_sel_hi:[1,1,0]
	v_fma_mix_f32 v66, v66, v68, 0 op_sel_hi:[1,1,0]
	v_cvt_f32_i32_e32 v46, v46
	v_cvt_f16_f32_e32 v43, v43
	v_sub_nc_u32_sdwa v59, v5, v26 dst_sel:DWORD dst_unused:UNUSED_PAD src0_sel:BYTE_2 src1_sel:DWORD
	v_fma_mix_f32 v72, v73, v68, v72 op_sel:[0,1,0] op_sel_hi:[1,1,0]
	v_fma_mix_f32 v66, v67, v68, v66 op_sel:[0,1,0] op_sel_hi:[1,1,0]
	v_cvt_f32_i32_e32 v63, v63
	v_cvt_f16_f32_e32 v60, v60
	v_sub_nc_u32_sdwa v52, v4, v27 dst_sel:DWORD dst_unused:UNUSED_PAD src0_sel:BYTE_3 src1_sel:DWORD
	v_fma_mix_f32 v56, v56, v69, v72 op_sel_hi:[1,1,0]
	v_cvt_f16_f32_e32 v65, v65
	v_fma_mix_f32 v64, v64, v68, 0 op_sel_hi:[1,1,0]
	v_fma_mix_f32 v57, v57, v69, v66 op_sel_hi:[1,1,0]
	v_cvt_f32_i32_e32 v58, v58
	v_fma_mix_f32 v42, v42, v69, v56 op_sel:[0,1,0] op_sel_hi:[1,1,0]
	v_cvt_f16_f32_e32 v46, v46
	v_sub_nc_u32_sdwa v54, v5, v26 dst_sel:DWORD dst_unused:UNUSED_PAD src0_sel:BYTE_3 src1_sel:DWORD
	v_cvt_f16_f32_e32 v63, v63
	v_fma_mix_f32 v60, v60, v68, 0 op_sel_hi:[1,1,0]
	v_fma_mix_f32 v42, v43, v70, v42 op_sel_hi:[1,1,0]
	v_cvt_f32_i32_e32 v43, v47
	v_cvt_f32_i32_e32 v59, v59
	v_sub_nc_u32_sdwa v53, v12, v27 dst_sel:DWORD dst_unused:UNUSED_PAD src0_sel:BYTE_0 src1_sel:DWORD
	v_fma_mix_f32 v64, v65, v68, v64 op_sel:[0,1,0] op_sel_hi:[1,1,0]
	v_cvt_f16_f32_e32 v58, v58
	v_fma_mix_f32 v46, v46, v69, v57 op_sel:[0,1,0] op_sel_hi:[1,1,0]
	v_cvt_f32_i32_e32 v52, v52
	v_cvt_f16_f32_e32 v43, v43
	v_sub_nc_u32_sdwa v55, v13, v26 dst_sel:DWORD dst_unused:UNUSED_PAD src0_sel:BYTE_0 src1_sel:DWORD
	v_fma_mix_f32 v60, v63, v68, v60 op_sel:[0,1,0] op_sel_hi:[1,1,0]
	v_cvt_f16_f32_e32 v59, v59
	v_cvt_f32_i32_e32 v54, v54
	v_sub_nc_u32_sdwa v34, v10, v29 dst_sel:DWORD dst_unused:UNUSED_PAD src0_sel:BYTE_1 src1_sel:DWORD
	v_sub_nc_u32_sdwa v35, v11, v28 dst_sel:DWORD dst_unused:UNUSED_PAD src0_sel:BYTE_1 src1_sel:DWORD
	;; [unrolled: 1-line block ×3, first 2 shown]
	v_fma_mix_f32 v58, v58, v69, v64 op_sel_hi:[1,1,0]
	v_cvt_f16_f32_e32 v52, v52
	v_fma_mix_f32 v43, v43, v70, v46 op_sel_hi:[1,1,0]
	v_cvt_f32_i32_e32 v46, v53
	v_sub_nc_u32_sdwa v41, v13, v26 dst_sel:DWORD dst_unused:UNUSED_PAD src0_sel:BYTE_1 src1_sel:DWORD
	v_fma_mix_f32 v59, v59, v69, v60 op_sel_hi:[1,1,0]
	v_cvt_f16_f32_e32 v54, v54
	v_cvt_f32_i32_e32 v47, v55
	v_sub_nc_u32_sdwa v31, v10, v29 dst_sel:DWORD dst_unused:UNUSED_PAD src0_sel:BYTE_2 src1_sel:DWORD
	v_sub_nc_u32_sdwa v32, v11, v28 dst_sel:DWORD dst_unused:UNUSED_PAD src0_sel:BYTE_2 src1_sel:DWORD
	;; [unrolled: 1-line block ×3, first 2 shown]
	v_fma_mix_f32 v52, v52, v69, v58 op_sel:[0,1,0] op_sel_hi:[1,1,0]
	v_cvt_f16_f32_e32 v46, v46
	v_cvt_f32_i32_e32 v34, v34
	v_cvt_f32_i32_e32 v35, v35
	;; [unrolled: 1-line block ×3, first 2 shown]
	v_sub_nc_u32_sdwa v2, v10, v29 dst_sel:DWORD dst_unused:UNUSED_PAD src0_sel:BYTE_3 src1_sel:DWORD
	v_sub_nc_u32_sdwa v10, v13, v26 dst_sel:DWORD dst_unused:UNUSED_PAD src0_sel:BYTE_2 src1_sel:DWORD
	v_fma_mix_f32 v54, v54, v69, v59 op_sel:[0,1,0] op_sel_hi:[1,1,0]
	v_cvt_f16_f32_e32 v47, v47
	v_cvt_f32_i32_e32 v41, v41
	v_sub_nc_u32_sdwa v3, v11, v28 dst_sel:DWORD dst_unused:UNUSED_PAD src0_sel:BYTE_3 src1_sel:DWORD
	v_sub_nc_u32_sdwa v4, v12, v27 dst_sel:DWORD dst_unused:UNUSED_PAD src0_sel:BYTE_3 src1_sel:DWORD
	v_fma_mix_f32 v46, v46, v70, v52 op_sel_hi:[1,1,0]
	v_cvt_f16_f32_e32 v34, v34
	v_cvt_f16_f32_e32 v35, v35
	;; [unrolled: 1-line block ×3, first 2 shown]
	v_cvt_f32_i32_e32 v31, v31
	v_cvt_f32_i32_e32 v32, v32
	;; [unrolled: 1-line block ×3, first 2 shown]
	v_sub_nc_u32_sdwa v5, v13, v26 dst_sel:DWORD dst_unused:UNUSED_PAD src0_sel:BYTE_3 src1_sel:DWORD
	v_fma_mix_f32 v47, v47, v70, v54 op_sel_hi:[1,1,0]
	v_cvt_f16_f32_e32 v41, v41
	v_cvt_f32_i32_e32 v10, v10
	v_fma_mix_f32 v34, v34, v70, v42 op_sel:[0,1,0] op_sel_hi:[1,1,0]
	v_fma_mix_f32 v35, v35, v70, v43 op_sel:[0,1,0] op_sel_hi:[1,1,0]
	;; [unrolled: 1-line block ×3, first 2 shown]
	v_cvt_f16_f32_e32 v31, v31
	v_cvt_f16_f32_e32 v32, v32
	;; [unrolled: 1-line block ×3, first 2 shown]
	v_cvt_f32_i32_e32 v2, v2
	v_cvt_f32_i32_e32 v3, v3
	v_cvt_f32_i32_e32 v4, v4
	v_fma_mix_f32 v46, v41, v70, v47 op_sel:[0,1,0] op_sel_hi:[1,1,0]
	v_cvt_f32_i32_e32 v5, v5
	v_cvt_f16_f32_e32 v10, v10
	global_load_dwordx4 v[11:14], v[0:1], off
	v_add_co_u32 v0, vcc_lo, v0, s4
	v_fma_mix_f32 v31, v31, v71, v34 op_sel_hi:[1,1,0]
	v_fma_mix_f32 v32, v32, v71, v35 op_sel_hi:[1,1,0]
	v_fma_mix_f32 v33, v33, v71, v40 op_sel_hi:[1,1,0]
	v_cvt_f16_f32_e32 v2, v2
	v_cvt_f16_f32_e32 v3, v3
	;; [unrolled: 1-line block ×3, first 2 shown]
	v_add_co_ci_u32_e64 v1, null, s5, v1, vcc_lo
	v_cvt_f16_f32_e32 v5, v5
	v_fma_mix_f32 v34, v10, v71, v46 op_sel_hi:[1,1,0]
	v_fma_mix_f32 v10, v2, v71, v31 op_sel:[0,1,0] op_sel_hi:[1,1,0]
	v_fma_mix_f32 v31, v3, v71, v32 op_sel:[0,1,0] op_sel_hi:[1,1,0]
	;; [unrolled: 1-line block ×3, first 2 shown]
	v_add_co_u32 v4, vcc_lo, v0, s4
	v_fma_mix_f32 v33, v5, v71, v34 op_sel:[0,1,0] op_sel_hi:[1,1,0]
	v_add_co_ci_u32_e64 v5, null, s5, v1, vcc_lo
	global_load_dwordx4 v[40:43], v[0:1], off
	s_add_i32 s6, s6, 64
	s_cmp_ge_i32 s18, s19
	global_load_dwordx4 v[0:3], v[4:5], off
	v_add_co_u32 v4, vcc_lo, v4, s4
	v_add_co_ci_u32_e64 v5, null, s5, v5, vcc_lo
	s_waitcnt vmcnt(2)
	v_sub_nc_u32_sdwa v61, v11, v29 dst_sel:DWORD dst_unused:UNUSED_PAD src0_sel:BYTE_0 src1_sel:DWORD
	v_sub_nc_u32_sdwa v62, v11, v29 dst_sel:DWORD dst_unused:UNUSED_PAD src0_sel:BYTE_1 src1_sel:DWORD
	v_sub_nc_u32_sdwa v50, v12, v28 dst_sel:DWORD dst_unused:UNUSED_PAD src0_sel:BYTE_0 src1_sel:DWORD
	v_sub_nc_u32_sdwa v48, v13, v27 dst_sel:DWORD dst_unused:UNUSED_PAD src0_sel:BYTE_0 src1_sel:DWORD
	;; [unrolled: 1-line block ×3, first 2 shown]
	v_sub_nc_u32_sdwa v51, v12, v28 dst_sel:DWORD dst_unused:UNUSED_PAD src0_sel:BYTE_1 src1_sel:DWORD
	v_sub_nc_u32_sdwa v49, v13, v27 dst_sel:DWORD dst_unused:UNUSED_PAD src0_sel:BYTE_1 src1_sel:DWORD
	;; [unrolled: 1-line block ×3, first 2 shown]
	v_cvt_f32_i32_e32 v50, v50
	v_cvt_f32_i32_e32 v48, v48
	;; [unrolled: 1-line block ×3, first 2 shown]
	v_sub_nc_u32_sdwa v36, v11, v29 dst_sel:DWORD dst_unused:UNUSED_PAD src0_sel:BYTE_2 src1_sel:DWORD
	v_sub_nc_u32_sdwa v37, v12, v28 dst_sel:DWORD dst_unused:UNUSED_PAD src0_sel:BYTE_2 src1_sel:DWORD
	;; [unrolled: 1-line block ×4, first 2 shown]
	v_cvt_f32_i32_e32 v51, v51
	v_cvt_f16_f32_e32 v50, v50
	v_cvt_f32_i32_e32 v49, v49
	v_cvt_f16_f32_e32 v48, v48
	;; [unrolled: 2-line block ×3, first 2 shown]
	s_waitcnt vmcnt(1)
	v_sub_nc_u32_sdwa v72, v40, v29 dst_sel:DWORD dst_unused:UNUSED_PAD src0_sel:BYTE_0 src1_sel:DWORD
	v_sub_nc_u32_sdwa v69, v40, v29 dst_sel:DWORD dst_unused:UNUSED_PAD src0_sel:BYTE_1 src1_sel:DWORD
	v_sub_nc_u32_sdwa v65, v40, v29 dst_sel:DWORD dst_unused:UNUSED_PAD src0_sel:BYTE_2 src1_sel:DWORD
	v_sub_nc_u32_sdwa v63, v40, v29 dst_sel:DWORD dst_unused:UNUSED_PAD src0_sel:BYTE_3 src1_sel:DWORD
	v_sub_nc_u32_sdwa v73, v41, v28 dst_sel:DWORD dst_unused:UNUSED_PAD src0_sel:BYTE_0 src1_sel:DWORD
	v_sub_nc_u32_sdwa v70, v41, v28 dst_sel:DWORD dst_unused:UNUSED_PAD src0_sel:BYTE_1 src1_sel:DWORD
	v_sub_nc_u32_sdwa v67, v41, v28 dst_sel:DWORD dst_unused:UNUSED_PAD src0_sel:BYTE_2 src1_sel:DWORD
	v_sub_nc_u32_sdwa v64, v41, v28 dst_sel:DWORD dst_unused:UNUSED_PAD src0_sel:BYTE_3 src1_sel:DWORD
	v_sub_nc_u32_sdwa v74, v42, v27 dst_sel:DWORD dst_unused:UNUSED_PAD src0_sel:BYTE_0 src1_sel:DWORD
	v_sub_nc_u32_sdwa v71, v42, v27 dst_sel:DWORD dst_unused:UNUSED_PAD src0_sel:BYTE_1 src1_sel:DWORD
	v_sub_nc_u32_sdwa v68, v42, v27 dst_sel:DWORD dst_unused:UNUSED_PAD src0_sel:BYTE_2 src1_sel:DWORD
	v_sub_nc_u32_sdwa v66, v42, v27 dst_sel:DWORD dst_unused:UNUSED_PAD src0_sel:BYTE_3 src1_sel:DWORD
	v_sub_nc_u32_sdwa v77, v43, v26 dst_sel:DWORD dst_unused:UNUSED_PAD src0_sel:BYTE_0 src1_sel:DWORD
	v_sub_nc_u32_sdwa v76, v43, v26 dst_sel:DWORD dst_unused:UNUSED_PAD src0_sel:BYTE_1 src1_sel:DWORD
	v_sub_nc_u32_sdwa v75, v43, v26 dst_sel:DWORD dst_unused:UNUSED_PAD src0_sel:BYTE_2 src1_sel:DWORD
	v_sub_nc_u32_sdwa v60, v43, v26 dst_sel:DWORD dst_unused:UNUSED_PAD src0_sel:BYTE_3 src1_sel:DWORD
	s_waitcnt vmcnt(0)
	v_sub_nc_u32_sdwa v58, v0, v29 dst_sel:DWORD dst_unused:UNUSED_PAD src0_sel:BYTE_0 src1_sel:DWORD
	v_sub_nc_u32_sdwa v59, v0, v29 dst_sel:DWORD dst_unused:UNUSED_PAD src0_sel:BYTE_1 src1_sel:DWORD
	v_sub_nc_u32_sdwa v42, v0, v29 dst_sel:DWORD dst_unused:UNUSED_PAD src0_sel:BYTE_2 src1_sel:DWORD
	v_sub_nc_u32_sdwa v40, v0, v29 dst_sel:DWORD dst_unused:UNUSED_PAD src0_sel:BYTE_3 src1_sel:DWORD
	v_sub_nc_u32_sdwa v56, v1, v28 dst_sel:DWORD dst_unused:UNUSED_PAD src0_sel:BYTE_0 src1_sel:DWORD
	v_sub_nc_u32_sdwa v57, v1, v28 dst_sel:DWORD dst_unused:UNUSED_PAD src0_sel:BYTE_1 src1_sel:DWORD
	v_sub_nc_u32_sdwa v43, v1, v28 dst_sel:DWORD dst_unused:UNUSED_PAD src0_sel:BYTE_2 src1_sel:DWORD
	v_sub_nc_u32_sdwa v41, v1, v28 dst_sel:DWORD dst_unused:UNUSED_PAD src0_sel:BYTE_3 src1_sel:DWORD
	v_cvt_f32_i32_e32 v0, v61
	v_cvt_f32_i32_e32 v1, v62
	v_sub_nc_u32_sdwa v54, v2, v27 dst_sel:DWORD dst_unused:UNUSED_PAD src0_sel:BYTE_0 src1_sel:DWORD
	v_sub_nc_u32_sdwa v55, v2, v27 dst_sel:DWORD dst_unused:UNUSED_PAD src0_sel:BYTE_1 src1_sel:DWORD
	v_sub_nc_u32_sdwa v46, v2, v27 dst_sel:DWORD dst_unused:UNUSED_PAD src0_sel:BYTE_2 src1_sel:DWORD
	v_sub_nc_u32_sdwa v34, v2, v27 dst_sel:DWORD dst_unused:UNUSED_PAD src0_sel:BYTE_3 src1_sel:DWORD
	v_sub_nc_u32_sdwa v52, v3, v26 dst_sel:DWORD dst_unused:UNUSED_PAD src0_sel:BYTE_0 src1_sel:DWORD
	v_sub_nc_u32_sdwa v53, v3, v26 dst_sel:DWORD dst_unused:UNUSED_PAD src0_sel:BYTE_1 src1_sel:DWORD
	v_sub_nc_u32_sdwa v47, v3, v26 dst_sel:DWORD dst_unused:UNUSED_PAD src0_sel:BYTE_2 src1_sel:DWORD
	v_sub_nc_u32_sdwa v35, v3, v26 dst_sel:DWORD dst_unused:UNUSED_PAD src0_sel:BYTE_3 src1_sel:DWORD
	v_cvt_f16_f32_e32 v61, v0
	v_cvt_f16_f32_e32 v62, v1
	ds_read_b128 v[0:3], v30 offset:16
	v_sub_nc_u32_sdwa v11, v11, v29 dst_sel:DWORD dst_unused:UNUSED_PAD src0_sel:BYTE_3 src1_sel:DWORD
	v_sub_nc_u32_sdwa v12, v12, v28 dst_sel:DWORD dst_unused:UNUSED_PAD src0_sel:BYTE_3 src1_sel:DWORD
	;; [unrolled: 1-line block ×4, first 2 shown]
	v_cvt_f16_f32_e32 v51, v51
	v_cvt_f16_f32_e32 v49, v49
	;; [unrolled: 1-line block ×3, first 2 shown]
	v_cvt_f32_i32_e32 v36, v36
	v_cvt_f32_i32_e32 v37, v37
	;; [unrolled: 1-line block ×5, first 2 shown]
	v_cvt_f16_f32_e32 v36, v36
	v_cvt_f16_f32_e32 v37, v37
	;; [unrolled: 1-line block ×4, first 2 shown]
	v_cvt_f32_i32_e32 v12, v12
	v_cvt_f32_i32_e32 v13, v13
	;; [unrolled: 1-line block ×3, first 2 shown]
	s_waitcnt lgkmcnt(0)
	v_fma_mix_f32 v61, v61, v0, 0 op_sel_hi:[1,1,0]
	v_fma_mix_f32 v50, v50, v0, 0 op_sel_hi:[1,1,0]
	;; [unrolled: 1-line block ×4, first 2 shown]
	v_cvt_f16_f32_e32 v11, v11
	v_fma_mix_f32 v61, v62, v0, v61 op_sel:[0,1,0] op_sel_hi:[1,1,0]
	v_fma_mix_f32 v50, v51, v0, v50 op_sel:[0,1,0] op_sel_hi:[1,1,0]
	;; [unrolled: 1-line block ×4, first 2 shown]
	v_cvt_f16_f32_e32 v12, v12
	v_fma_mix_f32 v36, v36, v1, v61 op_sel_hi:[1,1,0]
	v_fma_mix_f32 v37, v37, v1, v50 op_sel_hi:[1,1,0]
	;; [unrolled: 1-line block ×4, first 2 shown]
	v_cvt_f16_f32_e32 v13, v13
	v_cvt_f16_f32_e32 v14, v14
	v_fma_mix_f32 v11, v11, v1, v36 op_sel:[0,1,0] op_sel_hi:[1,1,0]
	v_fma_mix_f32 v12, v12, v1, v37 op_sel:[0,1,0] op_sel_hi:[1,1,0]
	v_cvt_f32_i32_e32 v36, v66
	v_fma_mix_f32 v13, v13, v1, v38 op_sel:[0,1,0] op_sel_hi:[1,1,0]
	v_fma_mix_f32 v0, v14, v1, v0 op_sel:[0,1,0] op_sel_hi:[1,1,0]
	v_cvt_f32_i32_e32 v1, v72
	v_cvt_f32_i32_e32 v14, v64
	v_cvt_f16_f32_e32 v36, v36
	v_cvt_f32_i32_e32 v54, v54
	v_cvt_f32_i32_e32 v42, v42
	v_cvt_f16_f32_e32 v1, v1
	v_cvt_f16_f32_e32 v14, v14
	v_cvt_f32_i32_e32 v55, v55
	v_cvt_f16_f32_e32 v54, v54
	v_cvt_f16_f32_e32 v42, v42
	v_fma_mix_f32 v1, v1, v2, v11 op_sel_hi:[1,1,0]
	v_cvt_f32_i32_e32 v11, v73
	v_cvt_f32_i32_e32 v56, v56
	v_cvt_f16_f32_e32 v55, v55
	v_cvt_f32_i32_e32 v52, v52
	v_cvt_f32_i32_e32 v57, v57
	v_cvt_f16_f32_e32 v11, v11
	v_cvt_f16_f32_e32 v56, v56
	v_cvt_f32_i32_e32 v53, v53
	v_cvt_f16_f32_e32 v52, v52
	v_cvt_f16_f32_e32 v57, v57
	v_fma_mix_f32 v11, v11, v2, v12 op_sel_hi:[1,1,0]
	v_cvt_f32_i32_e32 v12, v74
	v_cvt_f16_f32_e32 v53, v53
	v_cvt_f16_f32_e32 v12, v12
	v_fma_mix_f32 v12, v12, v2, v13 op_sel_hi:[1,1,0]
	v_cvt_f32_i32_e32 v13, v77
	v_cvt_f16_f32_e32 v13, v13
	v_fma_mix_f32 v0, v13, v2, v0 op_sel_hi:[1,1,0]
	v_cvt_f32_i32_e32 v13, v69
	v_cvt_f16_f32_e32 v13, v13
	v_fma_mix_f32 v1, v13, v2, v1 op_sel:[0,1,0] op_sel_hi:[1,1,0]
	v_cvt_f32_i32_e32 v13, v70
	v_cvt_f16_f32_e32 v13, v13
	v_fma_mix_f32 v11, v13, v2, v11 op_sel:[0,1,0] op_sel_hi:[1,1,0]
	;; [unrolled: 3-line block ×4, first 2 shown]
	v_cvt_f32_i32_e32 v2, v65
	v_cvt_f32_i32_e32 v13, v63
	v_cvt_f16_f32_e32 v2, v2
	v_cvt_f16_f32_e32 v13, v13
	v_fma_mix_f32 v1, v2, v3, v1 op_sel_hi:[1,1,0]
	v_cvt_f32_i32_e32 v2, v67
	v_cvt_f16_f32_e32 v2, v2
	v_fma_mix_f32 v2, v2, v3, v11 op_sel_hi:[1,1,0]
	v_cvt_f32_i32_e32 v11, v68
	;; [unrolled: 3-line block ×3, first 2 shown]
	v_fma_mix_f32 v36, v36, v3, v11 op_sel:[0,1,0] op_sel_hi:[1,1,0]
	v_cvt_f16_f32_e32 v12, v12
	v_fma_mixlo_f16 v36, v36, v18, 0 op_sel_hi:[0,1,0]
	v_fma_mix_f32 v37, v12, v3, v0 op_sel_hi:[1,1,0]
	v_fma_mix_f32 v0, v13, v3, v1 op_sel:[0,1,0] op_sel_hi:[1,1,0]
	v_fma_mix_f32 v1, v14, v3, v2 op_sel:[0,1,0] op_sel_hi:[1,1,0]
	global_load_dwordx4 v[11:14], v[4:5], off
	v_cvt_f32_i32_e32 v2, v60
	v_fma_mixlo_f16 v0, v0, v17, 0 op_sel_hi:[0,1,0]
	v_fma_mixlo_f16 v1, v1, v17, 0 op_sel:[0,1,0] op_sel_hi:[0,1,0]
	v_cvt_f16_f32_e32 v2, v2
	v_fma_mix_f32 v37, v2, v3, v37 op_sel:[0,1,0] op_sel_hi:[1,1,0]
	v_add_co_u32 v3, vcc_lo, v4, s4
	v_add_co_ci_u32_e64 v4, null, s5, v5, vcc_lo
	v_cvt_f32_i32_e32 v5, v58
	v_fma_mixlo_f16 v37, v37, v18, 0 op_sel:[0,1,0] op_sel_hi:[0,1,0]
	v_cvt_f16_f32_e32 v5, v5
	s_waitcnt vmcnt(0)
	v_sub_nc_u32_sdwa v2, v11, v29 dst_sel:DWORD dst_unused:UNUSED_PAD src0_sel:BYTE_0 src1_sel:DWORD
	v_sub_nc_u32_sdwa v63, v11, v29 dst_sel:DWORD dst_unused:UNUSED_PAD src0_sel:BYTE_1 src1_sel:DWORD
	v_sub_nc_u32_sdwa v64, v11, v29 dst_sel:DWORD dst_unused:UNUSED_PAD src0_sel:BYTE_2 src1_sel:DWORD
	v_sub_nc_u32_sdwa v65, v11, v29 dst_sel:DWORD dst_unused:UNUSED_PAD src0_sel:BYTE_3 src1_sel:DWORD
	v_cvt_f32_i32_e32 v11, v59
	v_sub_nc_u32_sdwa v66, v12, v28 dst_sel:DWORD dst_unused:UNUSED_PAD src0_sel:BYTE_0 src1_sel:DWORD
	v_sub_nc_u32_sdwa v49, v12, v28 dst_sel:DWORD dst_unused:UNUSED_PAD src0_sel:BYTE_1 src1_sel:DWORD
	v_sub_nc_u32_sdwa v50, v12, v28 dst_sel:DWORD dst_unused:UNUSED_PAD src0_sel:BYTE_2 src1_sel:DWORD
	v_sub_nc_u32_sdwa v51, v12, v28 dst_sel:DWORD dst_unused:UNUSED_PAD src0_sel:BYTE_3 src1_sel:DWORD
	v_sub_nc_u32_sdwa v60, v13, v27 dst_sel:DWORD dst_unused:UNUSED_PAD src0_sel:BYTE_0 src1_sel:DWORD
	v_sub_nc_u32_sdwa v61, v13, v27 dst_sel:DWORD dst_unused:UNUSED_PAD src0_sel:BYTE_1 src1_sel:DWORD
	v_sub_nc_u32_sdwa v39, v13, v27 dst_sel:DWORD dst_unused:UNUSED_PAD src0_sel:BYTE_2 src1_sel:DWORD
	v_sub_nc_u32_sdwa v38, v13, v27 dst_sel:DWORD dst_unused:UNUSED_PAD src0_sel:BYTE_3 src1_sel:DWORD
	;; [unrolled: 4-line block ×3, first 2 shown]
	v_cvt_f16_f32_e32 v58, v11
	ds_read_b128 v[11:14], v30 offset:32
	v_cvt_f32_i32_e32 v2, v2
	v_cvt_f32_i32_e32 v45, v45
	;; [unrolled: 1-line block ×5, first 2 shown]
	v_cvt_f16_f32_e32 v2, v2
	v_cvt_f16_f32_e32 v45, v45
	;; [unrolled: 1-line block ×5, first 2 shown]
	s_waitcnt lgkmcnt(0)
	v_fma_mix_f32 v5, v5, v11, 0 op_sel_hi:[1,1,0]
	v_fma_mix_f32 v54, v54, v11, 0 op_sel_hi:[1,1,0]
	v_fma_mix_f32 v56, v56, v11, 0 op_sel_hi:[1,1,0]
	v_fma_mix_f32 v52, v52, v11, 0 op_sel_hi:[1,1,0]
	v_fma_mix_f32 v5, v58, v11, v5 op_sel:[0,1,0] op_sel_hi:[1,1,0]
	v_fma_mix_f32 v54, v55, v11, v54 op_sel:[0,1,0] op_sel_hi:[1,1,0]
	;; [unrolled: 1-line block ×4, first 2 shown]
	v_fma_mix_f32 v5, v42, v12, v5 op_sel_hi:[1,1,0]
	v_cvt_f32_i32_e32 v42, v43
	v_cvt_f32_i32_e32 v43, v46
	v_cvt_f16_f32_e32 v42, v42
	v_cvt_f16_f32_e32 v43, v43
	v_fma_mix_f32 v42, v42, v12, v56 op_sel_hi:[1,1,0]
	v_fma_mix_f32 v46, v43, v12, v54 op_sel_hi:[1,1,0]
	v_cvt_f32_i32_e32 v43, v47
	v_cvt_f16_f32_e32 v43, v43
	v_fma_mix_f32 v47, v43, v12, v11 op_sel_hi:[1,1,0]
	v_cvt_f32_i32_e32 v11, v40
	v_cvt_f16_f32_e32 v11, v11
	v_fma_mix_f32 v5, v11, v12, v5 op_sel:[0,1,0] op_sel_hi:[1,1,0]
	v_cvt_f32_i32_e32 v11, v41
	v_fma_mix_f32 v41, v2, v13, v5 op_sel_hi:[1,1,0]
	v_cvt_f16_f32_e32 v11, v11
	v_fma_mixlo_f16 v2, v10, v17, 0 op_sel_hi:[0,1,0]
	v_fma_mixlo_f16 v5, v31, v17, 0 op_sel:[0,1,0] op_sel_hi:[0,1,0]
	v_fma_mixlo_f16 v10, v32, v18, 0 op_sel_hi:[0,1,0]
	v_fma_mix_f32 v52, v11, v12, v42 op_sel:[0,1,0] op_sel_hi:[1,1,0]
	v_fma_mixlo_f16 v11, v33, v18, 0 op_sel:[0,1,0] op_sel_hi:[0,1,0]
	v_add_co_u32 v42, vcc_lo, v3, s4
	v_add_f16_e32 v2, v9, v2
	v_add_f16_e32 v5, v8, v5
	v_add_co_ci_u32_e64 v43, null, s5, v4, vcc_lo
	v_add_f16_e32 v40, v7, v10
	v_add_f16_e32 v31, v6, v11
	global_load_dwordx4 v[8:11], v[3:4], off
	v_add_f16_e32 v33, v2, v0
	v_add_f16_e32 v32, v5, v1
	global_load_dwordx4 v[0:3], v[42:43], off
	v_cvt_f32_i32_e32 v4, v66
	v_cvt_f32_i32_e32 v5, v34
	;; [unrolled: 1-line block ×5, first 2 shown]
	v_cvt_f16_f32_e32 v4, v4
	v_cvt_f16_f32_e32 v5, v5
	;; [unrolled: 1-line block ×5, first 2 shown]
	v_fma_mix_f32 v34, v4, v13, v52 op_sel_hi:[1,1,0]
	v_fma_mix_f32 v35, v5, v12, v46 op_sel:[0,1,0] op_sel_hi:[1,1,0]
	v_fma_mix_f32 v12, v6, v12, v47 op_sel:[0,1,0] op_sel_hi:[1,1,0]
	ds_read_b128 v[4:7], v30 offset:48
	v_cvt_f32_i32_e32 v30, v63
	v_cvt_f32_i32_e32 v47, v50
	;; [unrolled: 1-line block ×5, first 2 shown]
	v_cvt_f16_f32_e32 v30, v30
	v_cvt_f32_i32_e32 v51, v61
	v_cvt_f16_f32_e32 v50, v50
	v_cvt_f16_f32_e32 v46, v46
	v_cvt_f32_i32_e32 v52, v62
	v_fma_mix_f32 v12, v45, v13, v12 op_sel_hi:[1,1,0]
	v_cvt_f16_f32_e32 v51, v51
	v_fma_mix_f32 v35, v50, v13, v35 op_sel_hi:[1,1,0]
	v_fma_mix_f32 v30, v30, v13, v41 op_sel:[0,1,0] op_sel_hi:[1,1,0]
	v_cvt_f16_f32_e32 v47, v47
	v_cvt_f16_f32_e32 v52, v52
	v_cvt_f32_i32_e32 v41, v44
	v_fma_mix_f32 v34, v46, v13, v34 op_sel:[0,1,0] op_sel_hi:[1,1,0]
	v_fma_mix_f32 v35, v51, v13, v35 op_sel:[0,1,0] op_sel_hi:[1,1,0]
	;; [unrolled: 1-line block ×3, first 2 shown]
	v_fma_mix_f32 v13, v42, v14, v30 op_sel_hi:[1,1,0]
	v_cvt_f16_f32_e32 v49, v49
	v_cvt_f16_f32_e32 v41, v41
	v_fma_mix_f32 v34, v47, v14, v34 op_sel_hi:[1,1,0]
	v_fma_mix_f32 v35, v39, v14, v35 op_sel_hi:[1,1,0]
	;; [unrolled: 1-line block ×3, first 2 shown]
	v_fma_mix_f32 v13, v43, v14, v13 op_sel:[0,1,0] op_sel_hi:[1,1,0]
	v_add_f16_e32 v30, v40, v36
	v_fma_mix_f32 v34, v49, v14, v34 op_sel:[0,1,0] op_sel_hi:[1,1,0]
	v_fma_mix_f32 v35, v38, v14, v35 op_sel:[0,1,0] op_sel_hi:[1,1,0]
	;; [unrolled: 1-line block ×3, first 2 shown]
	v_fma_mixlo_f16 v36, v13, v17, 0 op_sel_hi:[0,1,0]
	v_add_f16_e32 v13, v31, v37
	v_fma_mixlo_f16 v34, v34, v17, 0 op_sel:[0,1,0] op_sel_hi:[0,1,0]
	v_fma_mixlo_f16 v31, v35, v18, 0 op_sel_hi:[0,1,0]
	v_fma_mixlo_f16 v14, v12, v18, 0 op_sel:[0,1,0] op_sel_hi:[0,1,0]
	v_add_f16_e32 v12, v33, v36
	v_add_co_u32 v19, vcc_lo, v19, s2
	v_add_co_ci_u32_e64 v20, null, s3, v20, vcc_lo
	s_waitcnt vmcnt(1)
	v_sub_nc_u32_sdwa v33, v8, v29 dst_sel:DWORD dst_unused:UNUSED_PAD src0_sel:BYTE_0 src1_sel:DWORD
	v_sub_nc_u32_sdwa v35, v8, v29 dst_sel:DWORD dst_unused:UNUSED_PAD src0_sel:BYTE_1 src1_sel:DWORD
	v_sub_nc_u32_sdwa v36, v8, v29 dst_sel:DWORD dst_unused:UNUSED_PAD src0_sel:BYTE_2 src1_sel:DWORD
	v_sub_nc_u32_sdwa v37, v8, v29 dst_sel:DWORD dst_unused:UNUSED_PAD src0_sel:BYTE_3 src1_sel:DWORD
	v_add_f16_e32 v8, v32, v34
	v_cvt_f32_i32_e32 v32, v33
	v_cvt_f32_i32_e32 v33, v35
	;; [unrolled: 1-line block ×4, first 2 shown]
	s_waitcnt vmcnt(0)
	v_sub_nc_u32_sdwa v36, v0, v29 dst_sel:DWORD dst_unused:UNUSED_PAD src0_sel:BYTE_0 src1_sel:DWORD
	v_cvt_f16_f32_e32 v37, v32
	v_cvt_f16_f32_e32 v38, v33
	v_cvt_f16_f32_e32 v33, v34
	v_cvt_f16_f32_e32 v32, v35
	v_cvt_f32_i32_e32 v34, v36
	v_sub_nc_u32_sdwa v35, v0, v29 dst_sel:DWORD dst_unused:UNUSED_PAD src0_sel:BYTE_1 src1_sel:DWORD
	v_sub_nc_u32_sdwa v36, v0, v29 dst_sel:DWORD dst_unused:UNUSED_PAD src0_sel:BYTE_2 src1_sel:DWORD
	v_sub_nc_u32_sdwa v0, v0, v29 dst_sel:DWORD dst_unused:UNUSED_PAD src0_sel:BYTE_3 src1_sel:DWORD
	v_sub_nc_u32_sdwa v29, v9, v28 dst_sel:DWORD dst_unused:UNUSED_PAD src0_sel:BYTE_0 src1_sel:DWORD
	v_sub_nc_u32_sdwa v40, v9, v28 dst_sel:DWORD dst_unused:UNUSED_PAD src0_sel:BYTE_1 src1_sel:DWORD
	v_sub_nc_u32_sdwa v41, v1, v28 dst_sel:DWORD dst_unused:UNUSED_PAD src0_sel:BYTE_0 src1_sel:DWORD
	v_cvt_f32_i32_e32 v36, v36
	v_sub_nc_u32_sdwa v42, v1, v28 dst_sel:DWORD dst_unused:UNUSED_PAD src0_sel:BYTE_1 src1_sel:DWORD
	v_cvt_f32_i32_e32 v39, v29
	v_sub_nc_u32_sdwa v43, v1, v28 dst_sel:DWORD dst_unused:UNUSED_PAD src0_sel:BYTE_2 src1_sel:DWORD
	v_sub_nc_u32_sdwa v1, v1, v28 dst_sel:DWORD dst_unused:UNUSED_PAD src0_sel:BYTE_3 src1_sel:DWORD
	v_cvt_f16_f32_e32 v29, v36
	v_sub_nc_u32_sdwa v47, v11, v26 dst_sel:DWORD dst_unused:UNUSED_PAD src0_sel:BYTE_0 src1_sel:DWORD
	v_cvt_f16_f32_e32 v36, v39
	v_cvt_f32_i32_e32 v39, v40
	v_sub_nc_u32_sdwa v40, v9, v28 dst_sel:DWORD dst_unused:UNUSED_PAD src0_sel:BYTE_2 src1_sel:DWORD
	v_sub_nc_u32_sdwa v9, v9, v28 dst_sel:DWORD dst_unused:UNUSED_PAD src0_sel:BYTE_3 src1_sel:DWORD
	v_sub_nc_u32_sdwa v28, v10, v27 dst_sel:DWORD dst_unused:UNUSED_PAD src0_sel:BYTE_0 src1_sel:DWORD
	v_sub_nc_u32_sdwa v44, v10, v27 dst_sel:DWORD dst_unused:UNUSED_PAD src0_sel:BYTE_1 src1_sel:DWORD
	v_sub_nc_u32_sdwa v48, v11, v26 dst_sel:DWORD dst_unused:UNUSED_PAD src0_sel:BYTE_1 src1_sel:DWORD
	v_cvt_f32_i32_e32 v47, v47
	v_cvt_f16_f32_e32 v39, v39
	v_cvt_f32_i32_e32 v28, v28
	v_sub_nc_u32_sdwa v45, v10, v27 dst_sel:DWORD dst_unused:UNUSED_PAD src0_sel:BYTE_2 src1_sel:DWORD
	v_cvt_f32_i32_e32 v44, v44
	v_sub_nc_u32_sdwa v49, v11, v26 dst_sel:DWORD dst_unused:UNUSED_PAD src0_sel:BYTE_2 src1_sel:DWORD
	v_cvt_f32_i32_e32 v48, v48
	v_cvt_f16_f32_e32 v28, v28
	v_cvt_f16_f32_e32 v47, v47
	s_waitcnt lgkmcnt(0)
	v_fma_mix_f32 v36, v36, v4, 0 op_sel_hi:[1,1,0]
	v_cvt_f32_i32_e32 v40, v40
	v_cvt_f32_i32_e32 v45, v45
	v_sub_nc_u32_sdwa v10, v10, v27 dst_sel:DWORD dst_unused:UNUSED_PAD src0_sel:BYTE_3 src1_sel:DWORD
	v_cvt_f16_f32_e32 v44, v44
	v_sub_nc_u32_sdwa v11, v11, v26 dst_sel:DWORD dst_unused:UNUSED_PAD src0_sel:BYTE_3 src1_sel:DWORD
	v_sub_nc_u32_sdwa v50, v2, v27 dst_sel:DWORD dst_unused:UNUSED_PAD src0_sel:BYTE_1 src1_sel:DWORD
	v_sub_nc_u32_sdwa v51, v2, v27 dst_sel:DWORD dst_unused:UNUSED_PAD src0_sel:BYTE_2 src1_sel:DWORD
	v_fma_mix_f32 v37, v37, v4, 0 op_sel_hi:[1,1,0]
	v_cvt_f16_f32_e32 v48, v48
	v_cvt_f32_i32_e32 v49, v49
	v_fma_mix_f32 v36, v39, v4, v36 op_sel:[0,1,0] op_sel_hi:[1,1,0]
	v_fma_mix_f32 v28, v28, v4, 0 op_sel_hi:[1,1,0]
	v_fma_mix_f32 v39, v47, v4, 0 op_sel_hi:[1,1,0]
	v_cvt_f32_i32_e32 v9, v9
	v_cvt_f16_f32_e32 v40, v40
	v_cvt_f16_f32_e32 v45, v45
	v_cvt_f32_i32_e32 v10, v10
	v_sub_nc_u32_sdwa v46, v2, v27 dst_sel:DWORD dst_unused:UNUSED_PAD src0_sel:BYTE_0 src1_sel:DWORD
	v_sub_nc_u32_sdwa v2, v2, v27 dst_sel:DWORD dst_unused:UNUSED_PAD src0_sel:BYTE_3 src1_sel:DWORD
	v_cvt_f32_i32_e32 v27, v50
	v_cvt_f32_i32_e32 v50, v51
	;; [unrolled: 1-line block ×3, first 2 shown]
	v_sub_nc_u32_sdwa v51, v3, v26 dst_sel:DWORD dst_unused:UNUSED_PAD src0_sel:BYTE_0 src1_sel:DWORD
	v_fma_mix_f32 v37, v38, v4, v37 op_sel:[0,1,0] op_sel_hi:[1,1,0]
	v_cvt_f16_f32_e32 v49, v49
	v_fma_mix_f32 v28, v44, v4, v28 op_sel:[0,1,0] op_sel_hi:[1,1,0]
	v_fma_mix_f32 v4, v48, v4, v39 op_sel:[0,1,0] op_sel_hi:[1,1,0]
	v_cvt_f32_i32_e32 v41, v41
	v_cvt_f16_f32_e32 v9, v9
	v_cvt_f32_i32_e32 v46, v46
	v_cvt_f16_f32_e32 v10, v10
	v_sub_nc_u32_sdwa v38, v3, v26 dst_sel:DWORD dst_unused:UNUSED_PAD src0_sel:BYTE_1 src1_sel:DWORD
	v_cvt_f16_f32_e32 v11, v11
	v_cvt_f32_i32_e32 v51, v51
	v_fma_mix_f32 v33, v33, v5, v37 op_sel_hi:[1,1,0]
	v_fma_mix_f32 v36, v40, v5, v36 op_sel_hi:[1,1,0]
	;; [unrolled: 1-line block ×4, first 2 shown]
	v_cvt_f16_f32_e32 v34, v34
	v_cvt_f32_i32_e32 v35, v35
	v_cvt_f32_i32_e32 v42, v42
	v_cvt_f16_f32_e32 v41, v41
	v_cvt_f16_f32_e32 v46, v46
	v_cvt_f32_i32_e32 v38, v38
	v_sub_nc_u32_sdwa v47, v3, v26 dst_sel:DWORD dst_unused:UNUSED_PAD src0_sel:BYTE_2 src1_sel:DWORD
	v_cvt_f16_f32_e32 v51, v51
	v_fma_mix_f32 v32, v32, v5, v33 op_sel:[0,1,0] op_sel_hi:[1,1,0]
	v_fma_mix_f32 v9, v9, v5, v36 op_sel:[0,1,0] op_sel_hi:[1,1,0]
	;; [unrolled: 1-line block ×4, first 2 shown]
	v_cvt_f16_f32_e32 v35, v35
	v_cvt_f16_f32_e32 v42, v42
	v_cvt_f32_i32_e32 v43, v43
	v_cvt_f16_f32_e32 v27, v27
	v_cvt_f16_f32_e32 v38, v38
	v_cvt_f32_i32_e32 v39, v47
	v_sub_nc_u32_sdwa v3, v3, v26 dst_sel:DWORD dst_unused:UNUSED_PAD src0_sel:BYTE_3 src1_sel:DWORD
	v_fma_mix_f32 v5, v34, v6, v32 op_sel_hi:[1,1,0]
	v_fma_mix_f32 v9, v41, v6, v9 op_sel_hi:[1,1,0]
	;; [unrolled: 1-line block ×4, first 2 shown]
	v_cvt_f32_i32_e32 v0, v0
	v_cvt_f16_f32_e32 v43, v43
	v_cvt_f32_i32_e32 v1, v1
	v_cvt_f32_i32_e32 v2, v2
	v_cvt_f16_f32_e32 v50, v50
	v_cvt_f16_f32_e32 v37, v39
	v_cvt_f32_i32_e32 v3, v3
	v_fma_mix_f32 v5, v35, v6, v5 op_sel:[0,1,0] op_sel_hi:[1,1,0]
	v_fma_mix_f32 v9, v42, v6, v9 op_sel:[0,1,0] op_sel_hi:[1,1,0]
	;; [unrolled: 1-line block ×4, first 2 shown]
	v_cvt_f16_f32_e32 v0, v0
	v_cvt_f16_f32_e32 v1, v1
	;; [unrolled: 1-line block ×4, first 2 shown]
	v_fma_mix_f32 v5, v29, v7, v5 op_sel_hi:[1,1,0]
	v_fma_mix_f32 v6, v43, v7, v9 op_sel_hi:[1,1,0]
	;; [unrolled: 1-line block ×4, first 2 shown]
	v_add_f16_e32 v10, v30, v31
	v_fma_mix_f32 v0, v0, v7, v5 op_sel:[0,1,0] op_sel_hi:[1,1,0]
	v_fma_mix_f32 v1, v1, v7, v6 op_sel:[0,1,0] op_sel_hi:[1,1,0]
	v_fma_mix_f32 v2, v2, v7, v9 op_sel:[0,1,0] op_sel_hi:[1,1,0]
	v_fma_mix_f32 v3, v3, v7, v4 op_sel:[0,1,0] op_sel_hi:[1,1,0]
	v_add_f16_e32 v4, v13, v14
	v_fma_mixlo_f16 v0, v0, v17, 0 op_sel_hi:[0,1,0]
	v_fma_mixlo_f16 v1, v1, v17, 0 op_sel:[0,1,0] op_sel_hi:[0,1,0]
	v_fma_mixlo_f16 v2, v2, v18, 0 op_sel_hi:[0,1,0]
	v_fma_mixlo_f16 v3, v3, v18, 0 op_sel:[0,1,0] op_sel_hi:[0,1,0]
	v_add_f16_e32 v9, v12, v0
	v_add_f16_e32 v8, v8, v1
	;; [unrolled: 1-line block ×4, first 2 shown]
	s_cbranch_scc1 .LBB18_11
.LBB18_8:                               ; =>This Inner Loop Header: Depth=1
	s_cmp_lg_u32 s18, s8
	s_cbranch_scc1 .LBB18_7
; %bb.9:                                ;   in Loop: Header=BB18_8 Depth=1
	s_add_i32 s17, s17, 1
	s_add_i32 s8, s8, s16
	s_mul_i32 s1, s17, s0
	s_ashr_i32 s9, s1, 31
	v_add_nc_u32_e32 v2, s1, v15
	s_lshr_b32 s9, s9, 30
	s_add_i32 s9, s1, s9
	v_ashrrev_i32_e32 v3, 31, v2
	s_ashr_i32 s9, s9, 2
	v_add_nc_u32_e32 v0, s9, v21
	v_lshlrev_b64 v[2:3], 1, v[2:3]
	v_ashrrev_i32_e32 v1, 31, v0
	v_lshlrev_b64 v[0:1], 2, v[0:1]
	v_add_co_u32 v0, vcc_lo, s10, v0
	v_add_co_ci_u32_e64 v1, null, s11, v1, vcc_lo
	global_load_dword v4, v[0:1], off
	v_add_co_u32 v0, vcc_lo, s12, v2
	v_add_co_ci_u32_e64 v1, null, s13, v3, vcc_lo
	global_load_dwordx2 v[17:18], v[0:1], off
	s_waitcnt vmcnt(1)
	v_and_b32_e32 v22, 0xff, v4
	v_bfe_u32 v23, v4, 8, 8
	v_bfe_u32 v24, v4, 16, 8
	v_lshrrev_b32_e32 v25, 24, v4
	s_branch .LBB18_7
.LBB18_10:
	v_mov_b32_e32 v4, 0
	v_mov_b32_e32 v7, 0
	;; [unrolled: 1-line block ×3, first 2 shown]
	s_branch .LBB18_12
.LBB18_11:
	v_and_b32_e32 v5, 0xffff, v7
	v_perm_b32 v7, v8, v9, 0x5040100
	v_lshlrev_b32_e32 v4, 16, v6
.LBB18_12:
	v_mad_u64_u32 v[0:1], null, s0, s7, v[15:16]
	s_mov_b32 s0, 0
	v_ashrrev_i32_e32 v1, 31, v0
	v_lshlrev_b64 v[0:1], 1, v[0:1]
	v_add_co_u32 v0, vcc_lo, s14, v0
	v_add_co_ci_u32_e64 v1, null, s15, v1, vcc_lo
	global_load_dword v3, v[0:1], off
.LBB18_13:                              ; =>This Inner Loop Header: Depth=1
	s_waitcnt vmcnt(0)
	v_pk_add_f16 v2, v7, v3
	global_atomic_cmpswap v2, v[0:1], v[2:3], off glc
	s_waitcnt vmcnt(0)
	v_cmp_eq_u32_e32 vcc_lo, v3, v2
	v_mov_b32_e32 v3, v2
	s_or_b32 s0, vcc_lo, s0
	s_andn2_b32 exec_lo, exec_lo, s0
	s_cbranch_execnz .LBB18_13
; %bb.14:
	s_or_b32 exec_lo, exec_lo, s0
	global_load_dword v3, v[0:1], off offset:4
	v_or_b32_e32 v4, v4, v5
	s_mov_b32 s0, 0
.LBB18_15:                              ; =>This Inner Loop Header: Depth=1
	s_waitcnt vmcnt(0)
	v_pk_add_f16 v2, v4, v3
	global_atomic_cmpswap v2, v[0:1], v[2:3], off offset:4 glc
	s_waitcnt vmcnt(0)
	v_cmp_eq_u32_e32 vcc_lo, v3, v2
	v_mov_b32_e32 v3, v2
	s_or_b32 s0, vcc_lo, s0
	s_andn2_b32 exec_lo, exec_lo, s0
	s_cbranch_execnz .LBB18_15
.LBB18_16:
	s_endpgm
	.section	.rodata,"a",@progbits
	.p2align	6, 0x0
	.amdhsa_kernel _ZN4vllm4gptq33gemm_half_q_half_gptq_8bit_kernelILb1ELi1EEEvPK6__halfPKjS6_S4_PS2_iiiibPKi
		.amdhsa_group_segment_fixed_size 256
		.amdhsa_private_segment_fixed_size 0
		.amdhsa_kernarg_size 72
		.amdhsa_user_sgpr_count 6
		.amdhsa_user_sgpr_private_segment_buffer 1
		.amdhsa_user_sgpr_dispatch_ptr 0
		.amdhsa_user_sgpr_queue_ptr 0
		.amdhsa_user_sgpr_kernarg_segment_ptr 1
		.amdhsa_user_sgpr_dispatch_id 0
		.amdhsa_user_sgpr_flat_scratch_init 0
		.amdhsa_user_sgpr_private_segment_size 0
		.amdhsa_wavefront_size32 1
		.amdhsa_uses_dynamic_stack 0
		.amdhsa_system_sgpr_private_segment_wavefront_offset 0
		.amdhsa_system_sgpr_workgroup_id_x 1
		.amdhsa_system_sgpr_workgroup_id_y 1
		.amdhsa_system_sgpr_workgroup_id_z 1
		.amdhsa_system_sgpr_workgroup_info 0
		.amdhsa_system_vgpr_workitem_id 0
		.amdhsa_next_free_vgpr 78
		.amdhsa_next_free_sgpr 21
		.amdhsa_reserve_vcc 1
		.amdhsa_reserve_flat_scratch 0
		.amdhsa_float_round_mode_32 0
		.amdhsa_float_round_mode_16_64 0
		.amdhsa_float_denorm_mode_32 3
		.amdhsa_float_denorm_mode_16_64 3
		.amdhsa_dx10_clamp 1
		.amdhsa_ieee_mode 1
		.amdhsa_fp16_overflow 0
		.amdhsa_workgroup_processor_mode 1
		.amdhsa_memory_ordered 1
		.amdhsa_forward_progress 1
		.amdhsa_shared_vgpr_count 0
		.amdhsa_exception_fp_ieee_invalid_op 0
		.amdhsa_exception_fp_denorm_src 0
		.amdhsa_exception_fp_ieee_div_zero 0
		.amdhsa_exception_fp_ieee_overflow 0
		.amdhsa_exception_fp_ieee_underflow 0
		.amdhsa_exception_fp_ieee_inexact 0
		.amdhsa_exception_int_div_zero 0
	.end_amdhsa_kernel
	.section	.text._ZN4vllm4gptq33gemm_half_q_half_gptq_8bit_kernelILb1ELi1EEEvPK6__halfPKjS6_S4_PS2_iiiibPKi,"axG",@progbits,_ZN4vllm4gptq33gemm_half_q_half_gptq_8bit_kernelILb1ELi1EEEvPK6__halfPKjS6_S4_PS2_iiiibPKi,comdat
.Lfunc_end18:
	.size	_ZN4vllm4gptq33gemm_half_q_half_gptq_8bit_kernelILb1ELi1EEEvPK6__halfPKjS6_S4_PS2_iiiibPKi, .Lfunc_end18-_ZN4vllm4gptq33gemm_half_q_half_gptq_8bit_kernelILb1ELi1EEEvPK6__halfPKjS6_S4_PS2_iiiibPKi
                                        ; -- End function
	.set _ZN4vllm4gptq33gemm_half_q_half_gptq_8bit_kernelILb1ELi1EEEvPK6__halfPKjS6_S4_PS2_iiiibPKi.num_vgpr, 78
	.set _ZN4vllm4gptq33gemm_half_q_half_gptq_8bit_kernelILb1ELi1EEEvPK6__halfPKjS6_S4_PS2_iiiibPKi.num_agpr, 0
	.set _ZN4vllm4gptq33gemm_half_q_half_gptq_8bit_kernelILb1ELi1EEEvPK6__halfPKjS6_S4_PS2_iiiibPKi.numbered_sgpr, 21
	.set _ZN4vllm4gptq33gemm_half_q_half_gptq_8bit_kernelILb1ELi1EEEvPK6__halfPKjS6_S4_PS2_iiiibPKi.num_named_barrier, 0
	.set _ZN4vllm4gptq33gemm_half_q_half_gptq_8bit_kernelILb1ELi1EEEvPK6__halfPKjS6_S4_PS2_iiiibPKi.private_seg_size, 0
	.set _ZN4vllm4gptq33gemm_half_q_half_gptq_8bit_kernelILb1ELi1EEEvPK6__halfPKjS6_S4_PS2_iiiibPKi.uses_vcc, 1
	.set _ZN4vllm4gptq33gemm_half_q_half_gptq_8bit_kernelILb1ELi1EEEvPK6__halfPKjS6_S4_PS2_iiiibPKi.uses_flat_scratch, 0
	.set _ZN4vllm4gptq33gemm_half_q_half_gptq_8bit_kernelILb1ELi1EEEvPK6__halfPKjS6_S4_PS2_iiiibPKi.has_dyn_sized_stack, 0
	.set _ZN4vllm4gptq33gemm_half_q_half_gptq_8bit_kernelILb1ELi1EEEvPK6__halfPKjS6_S4_PS2_iiiibPKi.has_recursion, 0
	.set _ZN4vllm4gptq33gemm_half_q_half_gptq_8bit_kernelILb1ELi1EEEvPK6__halfPKjS6_S4_PS2_iiiibPKi.has_indirect_call, 0
	.section	.AMDGPU.csdata,"",@progbits
; Kernel info:
; codeLenInByte = 4644
; TotalNumSgprs: 23
; NumVgprs: 78
; ScratchSize: 0
; MemoryBound: 0
; FloatMode: 240
; IeeeMode: 1
; LDSByteSize: 256 bytes/workgroup (compile time only)
; SGPRBlocks: 0
; VGPRBlocks: 9
; NumSGPRsForWavesPerEU: 23
; NumVGPRsForWavesPerEU: 78
; Occupancy: 12
; WaveLimiterHint : 0
; COMPUTE_PGM_RSRC2:SCRATCH_EN: 0
; COMPUTE_PGM_RSRC2:USER_SGPR: 6
; COMPUTE_PGM_RSRC2:TRAP_HANDLER: 0
; COMPUTE_PGM_RSRC2:TGID_X_EN: 1
; COMPUTE_PGM_RSRC2:TGID_Y_EN: 1
; COMPUTE_PGM_RSRC2:TGID_Z_EN: 1
; COMPUTE_PGM_RSRC2:TIDIG_COMP_CNT: 0
	.section	.text._ZN4vllm4gptq33gemm_half_q_half_gptq_2bit_kernelILb1ELi2EEEvPK6__halfPKjS6_S4_PS2_iiiibPKi,"axG",@progbits,_ZN4vllm4gptq33gemm_half_q_half_gptq_2bit_kernelILb1ELi2EEEvPK6__halfPKjS6_S4_PS2_iiiibPKi,comdat
	.protected	_ZN4vllm4gptq33gemm_half_q_half_gptq_2bit_kernelILb1ELi2EEEvPK6__halfPKjS6_S4_PS2_iiiibPKi ; -- Begin function _ZN4vllm4gptq33gemm_half_q_half_gptq_2bit_kernelILb1ELi2EEEvPK6__halfPKjS6_S4_PS2_iiiibPKi
	.globl	_ZN4vllm4gptq33gemm_half_q_half_gptq_2bit_kernelILb1ELi2EEEvPK6__halfPKjS6_S4_PS2_iiiibPKi
	.p2align	8
	.type	_ZN4vllm4gptq33gemm_half_q_half_gptq_2bit_kernelILb1ELi2EEEvPK6__halfPKjS6_S4_PS2_iiiibPKi,@function
_ZN4vllm4gptq33gemm_half_q_half_gptq_2bit_kernelILb1ELi2EEEvPK6__halfPKjS6_S4_PS2_iiiibPKi: ; @_ZN4vllm4gptq33gemm_half_q_half_gptq_2bit_kernelILb1ELi2EEEvPK6__halfPKjS6_S4_PS2_iiiibPKi
; %bb.0:
	s_load_dwordx4 s[0:3], s[4:5], 0x2c
	s_lshl_b32 s18, s8, 7
	s_lshl_b32 s7, s7, 1
	s_add_i32 s8, s18, 0x80
	s_mov_b32 s20, exec_lo
	v_cvt_f64_u32_e32 v[1:2], s8
	s_load_dwordx8 s[8:15], s[4:5], 0x8
	s_waitcnt lgkmcnt(0)
	v_cvt_f64_i32_e32 v[3:4], s1
	v_min_f64 v[1:2], v[1:2], v[3:4]
	v_cvt_i32_f64_e32 v2, v[1:2]
	v_add_nc_u32_e32 v1, s18, v0
	v_readfirstlane_b32 s19, v2
	v_cmpx_lt_u32_e64 v1, v2
	s_cbranch_execz .LBB19_6
; %bb.1:
	s_clause 0x1
	s_load_dwordx2 s[16:17], s[4:5], 0x40
	s_load_dwordx2 s[4:5], s[4:5], 0x0
	v_mov_b32_e32 v2, 0
	v_lshlrev_b64 v[3:4], 2, v[1:2]
	v_mov_b32_e32 v6, v2
	v_mov_b32_e32 v5, v1
	s_waitcnt lgkmcnt(0)
	v_add_co_u32 v3, vcc_lo, s16, v3
	v_add_co_ci_u32_e64 v4, null, s17, v4, vcc_lo
	s_cmp_lg_u64 s[16:17], 0
	s_cselect_b32 s21, -1, 0
	s_cmp_eq_u64 s[16:17], 0
	s_cbranch_scc1 .LBB19_3
; %bb.2:
	global_load_dword v5, v[3:4], off
	s_waitcnt vmcnt(0)
	v_ashrrev_i32_e32 v6, 31, v5
.LBB19_3:
	s_mul_i32 s16, s7, s1
	v_lshlrev_b64 v[5:6], 1, v[5:6]
	s_ashr_i32 s17, s16, 31
	s_lshl_b64 s[22:23], s[16:17], 1
	s_add_u32 s17, s4, s22
	s_addc_u32 s22, s5, s23
	v_add_co_u32 v5, vcc_lo, s17, v5
	v_add_co_ci_u32_e64 v6, null, s22, v6, vcc_lo
	s_andn2_b32 vcc_lo, exec_lo, s21
	global_load_ushort v6, v[5:6], off
	v_lshlrev_b32_e32 v5, 1, v0
	s_waitcnt vmcnt(0)
	ds_write_b16 v5, v6
	s_cbranch_vccnz .LBB19_5
; %bb.4:
	global_load_dword v1, v[3:4], off
	s_waitcnt vmcnt(0)
	v_ashrrev_i32_e32 v2, 31, v1
.LBB19_5:
	s_add_i32 s16, s16, s1
	v_lshlrev_b64 v[1:2], 1, v[1:2]
	s_ashr_i32 s17, s16, 31
	s_lshl_b64 s[16:17], s[16:17], 1
	s_add_u32 s4, s4, s16
	s_addc_u32 s5, s5, s17
	v_add_co_u32 v1, vcc_lo, s4, v1
	v_add_co_ci_u32_e64 v2, null, s5, v2, vcc_lo
	global_load_ushort v1, v[1:2], off
	s_waitcnt vmcnt(0)
	ds_write_b16 v5, v1 offset:256
.LBB19_6:
	s_or_b32 exec_lo, exec_lo, s20
	v_lshlrev_b32_e32 v1, 2, v0
	s_mov_b32 s4, exec_lo
	v_lshl_add_u32 v1, s6, 9, v1
	v_cmpx_gt_i32_e64 s0, v1
	s_cbranch_execz .LBB19_20
; %bb.7:
	s_abs_i32 s5, s2
	v_mov_b32_e32 v11, 0
	v_cvt_f32_u32_e32 v2, s5
	v_mov_b32_e32 v9, 0
	v_mov_b32_e32 v8, 0
	;; [unrolled: 1-line block ×3, first 2 shown]
	s_cmp_ge_i32 s18, s19
	v_rcp_iflag_f32_e32 v2, v2
	s_mov_b32 s4, 0
	s_waitcnt lgkmcnt(0)
	s_barrier
	buffer_gl0_inv
	v_mul_f32_e32 v2, 0x4f7ffffe, v2
	v_cvt_u32_f32_e32 v2, v2
	v_readfirstlane_b32 s6, v2
	s_cbranch_scc1 .LBB19_12
; %bb.8:
	s_sub_i32 s16, 0, s5
	s_abs_i32 s17, s1
	s_mul_i32 s16, s16, s6
	s_ashr_i32 s1, s1, 31
	s_mul_hi_u32 s16, s6, s16
	s_ashr_i32 s2, s2, 31
	s_add_i32 s6, s6, s16
	s_xor_b32 s1, s1, s2
	s_mul_hi_u32 s6, s17, s6
	v_lshlrev_b32_e32 v13, 3, v0
	s_mul_i32 s16, s6, s5
	v_mov_b32_e32 v7, 0
	s_sub_i32 s2, s17, s16
	s_add_i32 s16, s6, 1
	s_sub_i32 s17, s2, s5
	s_cmp_ge_u32 s2, s5
	v_and_b32_e32 v12, 24, v13
	s_cselect_b32 s6, s16, s6
	s_cselect_b32 s2, s17, s2
	s_add_i32 s16, s6, 1
	s_cmp_ge_u32 s2, s5
	v_mov_b32_e32 v0, 0x10001
	s_cselect_b32 s2, s16, s6
	v_mov_b32_e32 v8, 0
	s_xor_b32 s2, s2, s1
	v_mov_b32_e32 v9, 0
	s_sub_i32 s5, s2, s1
	s_bitcmp1_b32 s3, 0
	v_cvt_f32_u32_e32 v2, s5
	s_cselect_b32 s2, -1, 0
	s_sub_i32 s3, 0, s5
	s_xor_b32 s20, s2, -1
	s_mov_b32 s16, 0x10001
	v_rcp_iflag_f32_e32 v2, v2
	s_mov_b32 s17, 0x30003
	v_mul_f32_e32 v2, 0x4f7ffffe, v2
	v_cvt_u32_f32_e32 v2, v2
	v_readfirstlane_b32 s1, v2
	v_ashrrev_i32_e32 v2, 31, v1
	s_mul_i32 s3, s3, s1
	v_lshrrev_b32_e32 v3, 28, v2
	s_mul_hi_u32 s3, s1, s3
	s_add_i32 s1, s1, s3
	v_add_nc_u32_e32 v3, v1, v3
	s_mul_hi_u32 s1, s18, s1
	s_mul_i32 s3, s1, s5
	s_sub_i32 s2, s18, s3
	s_add_i32 s3, s1, 1
	s_sub_i32 s6, s2, s5
	s_cmp_ge_u32 s2, s5
	v_ashrrev_i32_e32 v10, 4, v3
	s_cselect_b32 s1, s3, s1
	s_cselect_b32 s2, s6, s2
	s_add_i32 s3, s1, 1
	s_cmp_ge_u32 s2, s5
	s_cselect_b32 s6, s3, s1
	s_mul_i32 s1, s6, s0
	s_ashr_i32 s2, s1, 31
	v_add_nc_u32_e32 v5, s1, v1
	s_lshr_b32 s2, s2, 28
	s_add_i32 s2, s1, s2
	s_lshr_b32 s1, s18, 4
	s_ashr_i32 s2, s2, 4
	v_ashrrev_i32_e32 v6, 31, v5
	v_add_nc_u32_e32 v3, s2, v10
	s_mul_i32 s2, s0, s1
	s_ashr_i32 s1, s0, 31
	s_ashr_i32 s3, s2, 31
	v_ashrrev_i32_e32 v4, 31, v3
	s_lshl_b64 s[2:3], s[2:3], 2
	v_lshlrev_b64 v[3:4], 2, v[3:4]
	v_add_co_u32 v3, vcc_lo, s10, v3
	v_add_co_ci_u32_e64 v4, null, s11, v4, vcc_lo
	global_load_dword v11, v[3:4], off
	v_lshlrev_b64 v[3:4], 1, v[5:6]
	v_lshlrev_b64 v[5:6], 2, v[1:2]
	v_cndmask_b32_e64 v2, 0, 1, s20
	s_add_i32 s20, s5, s18
	s_add_u32 s8, s8, s2
	s_addc_u32 s9, s9, s3
	v_add_co_u32 v3, vcc_lo, s12, v3
	v_add_co_ci_u32_e64 v4, null, s13, v4, vcc_lo
	v_add_co_u32 v5, vcc_lo, s8, v5
	v_add_co_ci_u32_e64 v6, null, s9, v6, vcc_lo
	global_load_dwordx2 v[3:4], v[3:4], off
	v_add_co_u32 v5, vcc_lo, v5, 8
	v_add_co_ci_u32_e64 v6, null, 0, v6, vcc_lo
	s_lshl_b64 s[2:3], s[0:1], 2
	s_mov_b32 s1, 0xc000c
	s_mov_b32 s8, 0x300030
	;; [unrolled: 1-line block ×3, first 2 shown]
	s_waitcnt vmcnt(1)
	v_lshrrev_b32_e32 v16, v13, v11
	v_bfe_u32 v13, v11, v12, 2
	v_mov_b32_e32 v11, 0
	v_bfe_u32 v14, v16, 2, 2
	v_bfe_u32 v15, v16, 4, 2
	;; [unrolled: 1-line block ×3, first 2 shown]
	s_branch .LBB19_10
.LBB19_9:                               ;   in Loop: Header=BB19_10 Depth=1
	v_add_nc_u32_e32 v17, v13, v2
	v_mov_b32_e32 v57, s4
	s_add_i32 s18, s18, 16
	s_add_i32 s4, s4, 32
	s_cmp_ge_i32 s18, s19
	v_cvt_f32_i32_e32 v18, v17
	v_and_b32_e32 v17, 0x1bff, v17
	v_cvt_f16_f32_e32 v18, v18
	v_mad_u32_u24 v21, v17, s16, 0xe400e400
	v_add_nc_u32_e32 v17, v14, v2
	v_sub_f16_e32 v19, 0xdc00, v18
	v_sub_f16_e32 v20, 0xd400, v18
	v_sub_f16_e32 v18, 0xcc00, v18
	v_mul_u32_u24_sdwa v22, v19, v0 dst_sel:DWORD dst_unused:UNUSED_PAD src0_sel:WORD_0 src1_sel:DWORD
	v_mul_u32_u24_sdwa v23, v20, v0 dst_sel:DWORD dst_unused:UNUSED_PAD src0_sel:WORD_0 src1_sel:DWORD
	v_mul_u32_u24_sdwa v24, v18, v0 dst_sel:DWORD dst_unused:UNUSED_PAD src0_sel:WORD_0 src1_sel:DWORD
	v_cvt_f32_i32_e32 v18, v17
	v_and_b32_e32 v17, 0x1bff, v17
	v_cvt_f16_f32_e32 v18, v18
	v_mad_u32_u24 v25, v17, s16, 0xe400e400
	v_add_nc_u32_e32 v17, v15, v2
	v_sub_f16_e32 v19, 0xdc00, v18
	v_sub_f16_e32 v20, 0xd400, v18
	v_sub_f16_e32 v18, 0xcc00, v18
	v_mul_u32_u24_sdwa v26, v19, v0 dst_sel:DWORD dst_unused:UNUSED_PAD src0_sel:WORD_0 src1_sel:DWORD
	v_mul_u32_u24_sdwa v27, v20, v0 dst_sel:DWORD dst_unused:UNUSED_PAD src0_sel:WORD_0 src1_sel:DWORD
	v_mul_u32_u24_sdwa v28, v18, v0 dst_sel:DWORD dst_unused:UNUSED_PAD src0_sel:WORD_0 src1_sel:DWORD
	;; [unrolled: 11-line block ×3, first 2 shown]
	v_cvt_f32_i32_e32 v18, v17
	v_and_b32_e32 v17, 0x1bff, v17
	v_cvt_f16_f32_e32 v18, v18
	v_mad_u32_u24 v45, v17, s16, 0xe400e400
	v_sub_f16_e32 v19, 0xdc00, v18
	v_sub_f16_e32 v20, 0xd400, v18
	;; [unrolled: 1-line block ×3, first 2 shown]
	v_mul_u32_u24_sdwa v46, v19, v0 dst_sel:DWORD dst_unused:UNUSED_PAD src0_sel:WORD_0 src1_sel:DWORD
	v_mul_u32_u24_sdwa v47, v20, v0 dst_sel:DWORD dst_unused:UNUSED_PAD src0_sel:WORD_0 src1_sel:DWORD
	;; [unrolled: 1-line block ×3, first 2 shown]
	global_load_dwordx4 v[17:20], v[5:6], off offset:-8
	v_add_co_u32 v5, vcc_lo, v5, s2
	v_add_co_ci_u32_e64 v6, null, s3, v6, vcc_lo
	s_waitcnt vmcnt(0)
	v_and_or_b32 v33, v17, s17, 0x64006400
	v_and_or_b32 v34, v17, s1, 0x64006400
	;; [unrolled: 1-line block ×4, first 2 shown]
	v_lshrrev_b32_e32 v17, 8, v17
	v_pk_add_f16 v53, v21, v33
	v_pk_fma_f16 v54, 0x3400, v34, v22 op_sel_hi:[0,1,1]
	v_pk_fma_f16 v55, 0x2c00, v35, v23 op_sel_hi:[0,1,1]
	;; [unrolled: 1-line block ×3, first 2 shown]
	v_and_or_b32 v37, v17, s17, 0x64006400
	v_and_or_b32 v38, v17, s1, 0x64006400
	;; [unrolled: 1-line block ×4, first 2 shown]
	v_pk_add_f16 v35, v21, v37
	v_pk_fma_f16 v36, 0x3400, v38, v22 op_sel_hi:[0,1,1]
	v_pk_fma_f16 v33, 0x2c00, v39, v23 op_sel_hi:[0,1,1]
	;; [unrolled: 1-line block ×3, first 2 shown]
	v_and_or_b32 v17, v18, s17, 0x64006400
	v_and_or_b32 v21, v18, s1, 0x64006400
	;; [unrolled: 1-line block ×4, first 2 shown]
	v_lshrrev_b32_e32 v18, 8, v18
	v_pk_add_f16 v37, v25, v17
	v_pk_fma_f16 v38, 0x3400, v21, v26 op_sel_hi:[0,1,1]
	v_pk_fma_f16 v39, 0x2c00, v22, v27 op_sel_hi:[0,1,1]
	v_and_or_b32 v17, v19, s17, 0x64006400
	v_and_or_b32 v24, v18, s17, 0x64006400
	;; [unrolled: 1-line block ×7, first 2 shown]
	v_pk_fma_f16 v40, 0x2400, v23, v28 op_sel_hi:[0,1,1]
	v_pk_fma_f16 v43, 0x2c00, v43, v27 op_sel_hi:[0,1,1]
	;; [unrolled: 1-line block ×3, first 2 shown]
	v_and_or_b32 v18, v19, s1, 0x64006400
	v_lshrrev_b32_e32 v19, 8, v19
	v_pk_add_f16 v41, v25, v24
	v_pk_add_f16 v23, v29, v17
	v_pk_fma_f16 v25, 0x2c00, v21, v31 op_sel_hi:[0,1,1]
	v_pk_fma_f16 v24, 0x3400, v18, v30 op_sel_hi:[0,1,1]
	v_and_or_b32 v27, v19, s17, 0x64006400
	v_and_or_b32 v28, v19, s1, 0x64006400
	;; [unrolled: 1-line block ×6, first 2 shown]
	v_pk_fma_f16 v28, 0x3400, v28, v30 op_sel_hi:[0,1,1]
	v_and_or_b32 v21, v20, s9, 0x64006400
	v_pk_fma_f16 v30, 0x2400, v19, v32 op_sel_hi:[0,1,1]
	v_and_or_b32 v19, v20, s8, 0x64006400
	v_lshrrev_b32_e32 v20, 8, v20
	v_pk_add_f16 v27, v29, v27
	v_pk_fma_f16 v29, 0x2c00, v49, v31 op_sel_hi:[0,1,1]
	v_pk_fma_f16 v42, 0x3400, v42, v26 op_sel_hi:[0,1,1]
	;; [unrolled: 1-line block ×3, first 2 shown]
	v_and_or_b32 v49, v20, s17, 0x64006400
	v_and_or_b32 v50, v20, s1, 0x64006400
	;; [unrolled: 1-line block ×4, first 2 shown]
	v_pk_add_f16 v31, v45, v17
	v_pk_fma_f16 v32, 0x3400, v18, v46 op_sel_hi:[0,1,1]
	v_pk_fma_f16 v22, 0x2c00, v19, v47 op_sel_hi:[0,1,1]
	v_pk_add_f16 v20, v45, v49
	v_pk_fma_f16 v19, 0x3400, v50, v46 op_sel_hi:[0,1,1]
	ds_read2_b32 v[45:46], v57 offset1:1
	v_pk_fma_f16 v18, 0x2c00, v51, v47 op_sel_hi:[0,1,1]
	v_pk_fma_f16 v21, 0x2400, v21, v48 op_sel_hi:[0,1,1]
	;; [unrolled: 1-line block ×3, first 2 shown]
	s_waitcnt lgkmcnt(0)
	v_pk_fma_f16 v47, v53, v45, 0
	v_pk_fma_f16 v59, v37, v45, 0
	v_pk_fma_f16 v60, v23, v45, 0
	v_pk_fma_f16 v45, v31, v45, 0
	v_pk_fma_f16 v49, v54, v46, v47
	ds_read2_b32 v[47:48], v57 offset0:2 offset1:3
	v_pk_fma_f16 v59, v38, v46, v59
	v_pk_fma_f16 v45, v32, v46, v45
	v_pk_fma_f16 v60, v24, v46, v60
	s_waitcnt lgkmcnt(0)
	v_pk_fma_f16 v49, v55, v47, v49
	v_pk_fma_f16 v45, v22, v47, v45
	v_pk_fma_f16 v59, v39, v47, v59
	v_pk_fma_f16 v60, v25, v47, v60
	v_pk_fma_f16 v51, v56, v48, v49
	ds_read2_b32 v[49:50], v57 offset0:4 offset1:5
	v_pk_fma_f16 v45, v21, v48, v45
	v_pk_fma_f16 v59, v40, v48, v59
	v_pk_fma_f16 v60, v26, v48, v60
	;; [unrolled: 10-line block ×4, first 2 shown]
	s_waitcnt lgkmcnt(0)
	v_pk_fma_f16 v47, v53, v45, 0
	v_pk_fma_f16 v23, v23, v45, 0
	;; [unrolled: 1-line block ×3, first 2 shown]
	ds_read2_b32 v[47:48], v57 offset0:66 offset1:67
	v_pk_fma_f16 v23, v24, v46, v23
	v_pk_fma_f16 v24, v31, v45, 0
	;; [unrolled: 1-line block ×3, first 2 shown]
	s_waitcnt lgkmcnt(0)
	v_pk_fma_f16 v49, v55, v47, v49
	v_pk_fma_f16 v22, v22, v47, v24
	;; [unrolled: 1-line block ×4, first 2 shown]
	ds_read2_b32 v[49:50], v57 offset0:68 offset1:69
	v_pk_fma_f16 v21, v21, v48, v22
	v_pk_fma_f16 v23, v26, v48, v23
	s_waitcnt lgkmcnt(0)
	v_pk_fma_f16 v35, v35, v49, v52
	v_pk_fma_f16 v20, v20, v49, v21
	;; [unrolled: 1-line block ×4, first 2 shown]
	ds_read2_b32 v[35:36], v57 offset0:70 offset1:71
	v_pk_fma_f16 v19, v19, v50, v20
	v_pk_fma_f16 v23, v28, v50, v23
	s_waitcnt lgkmcnt(0)
	v_pk_fma_f16 v33, v33, v35, v52
	v_pk_fma_f16 v18, v18, v35, v19
	;; [unrolled: 1-line block ×3, first 2 shown]
	v_perm_b32 v19, v51, v60, 0x7060302
	v_pk_fma_f16 v33, v34, v36, v33
	v_pk_fma_f16 v34, v37, v45, 0
	v_pack_b32_f16 v37, v58, v59
	v_pk_fma_f16 v17, v17, v36, v18
	v_pack_b32_f16 v18, v60, v51
	v_pk_fma_f16 v23, v30, v36, v23
	v_pk_fma_f16 v34, v38, v46, v34
	v_perm_b32 v38, v59, v58, 0x7060302
	v_pk_add_f16 v18, v18, v19
	v_pk_fma_f16 v34, v39, v47, v34
	v_pk_add_f16 v37, v37, v38
	v_pk_fma_f16 v9, v18, v4, v9
	v_pack_b32_f16 v18, v23, v17
	v_pk_fma_f16 v34, v40, v48, v34
	v_pk_fma_f16 v11, v37, v3, v11
	v_perm_b32 v17, v17, v23, 0x7060302
	v_pk_fma_f16 v34, v41, v49, v34
	v_pk_add_f16 v17, v18, v17
	v_pk_fma_f16 v34, v42, v50, v34
	v_pk_fma_f16 v7, v17, v4, v7
	;; [unrolled: 1-line block ×4, first 2 shown]
	v_pack_b32_f16 v37, v33, v34
	v_perm_b32 v33, v34, v33, 0x7060302
	v_pk_add_f16 v33, v37, v33
	v_pk_fma_f16 v8, v33, v3, v8
	s_cbranch_scc1 .LBB19_12
.LBB19_10:                              ; =>This Inner Loop Header: Depth=1
	s_cmp_lg_u32 s18, s20
	s_cbranch_scc1 .LBB19_9
; %bb.11:                               ;   in Loop: Header=BB19_10 Depth=1
	s_add_i32 s6, s6, 1
	s_add_i32 s20, s20, s5
	s_mul_i32 s21, s6, s0
	s_ashr_i32 s22, s21, 31
	v_add_nc_u32_e32 v13, s21, v1
	s_lshr_b32 s22, s22, 28
	s_add_i32 s22, s21, s22
	v_ashrrev_i32_e32 v14, 31, v13
	s_ashr_i32 s22, s22, 4
	s_waitcnt vmcnt(0)
	v_add_nc_u32_e32 v3, s22, v10
	v_lshlrev_b64 v[13:14], 1, v[13:14]
	v_ashrrev_i32_e32 v4, 31, v3
	v_lshlrev_b64 v[3:4], 2, v[3:4]
	v_add_co_u32 v3, vcc_lo, s10, v3
	v_add_co_ci_u32_e64 v4, null, s11, v4, vcc_lo
	global_load_dword v15, v[3:4], off
	v_add_co_u32 v3, vcc_lo, s12, v13
	v_add_co_ci_u32_e64 v4, null, s13, v14, vcc_lo
	global_load_dwordx2 v[3:4], v[3:4], off
	s_waitcnt vmcnt(1)
	v_lshrrev_b32_e32 v16, v12, v15
	v_bfe_u32 v13, v15, v12, 2
	v_bfe_u32 v14, v16, 2, 2
	;; [unrolled: 1-line block ×4, first 2 shown]
	s_branch .LBB19_9
.LBB19_12:
	v_mad_u64_u32 v[0:1], null, s7, s0, v[1:2]
	s_mov_b32 s1, 0
	v_ashrrev_i32_e32 v1, 31, v0
	v_lshlrev_b64 v[1:2], 1, v[0:1]
	v_add_co_u32 v1, vcc_lo, s14, v1
	v_add_co_ci_u32_e64 v2, null, s15, v2, vcc_lo
	global_load_dword v4, v[1:2], off
.LBB19_13:                              ; =>This Inner Loop Header: Depth=1
	s_waitcnt vmcnt(0)
	v_pk_add_f16 v3, v11, v4
	global_atomic_cmpswap v3, v[1:2], v[3:4], off glc
	s_waitcnt vmcnt(0)
	v_cmp_eq_u32_e32 vcc_lo, v4, v3
	v_mov_b32_e32 v4, v3
	s_or_b32 s1, vcc_lo, s1
	s_andn2_b32 exec_lo, exec_lo, s1
	s_cbranch_execnz .LBB19_13
; %bb.14:
	s_or_b32 exec_lo, exec_lo, s1
	global_load_dword v4, v[1:2], off offset:4
	s_mov_b32 s1, 0
.LBB19_15:                              ; =>This Inner Loop Header: Depth=1
	s_waitcnt vmcnt(0)
	v_pk_add_f16 v3, v9, v4
	global_atomic_cmpswap v3, v[1:2], v[3:4], off offset:4 glc
	s_waitcnt vmcnt(0)
	v_cmp_eq_u32_e32 vcc_lo, v4, v3
	v_mov_b32_e32 v4, v3
	s_or_b32 s1, vcc_lo, s1
	s_andn2_b32 exec_lo, exec_lo, s1
	s_cbranch_execnz .LBB19_15
; %bb.16:
	s_or_b32 exec_lo, exec_lo, s1
	v_add_nc_u32_e32 v0, s0, v0
	s_mov_b32 s0, 0
	v_ashrrev_i32_e32 v1, 31, v0
	v_lshlrev_b64 v[0:1], 1, v[0:1]
	v_add_co_u32 v0, vcc_lo, s14, v0
	v_add_co_ci_u32_e64 v1, null, s15, v1, vcc_lo
	global_load_dword v3, v[0:1], off
.LBB19_17:                              ; =>This Inner Loop Header: Depth=1
	s_waitcnt vmcnt(0)
	v_pk_add_f16 v2, v8, v3
	global_atomic_cmpswap v2, v[0:1], v[2:3], off glc
	s_waitcnt vmcnt(0)
	v_cmp_eq_u32_e32 vcc_lo, v3, v2
	v_mov_b32_e32 v3, v2
	s_or_b32 s0, vcc_lo, s0
	s_andn2_b32 exec_lo, exec_lo, s0
	s_cbranch_execnz .LBB19_17
; %bb.18:
	s_or_b32 exec_lo, exec_lo, s0
	global_load_dword v3, v[0:1], off offset:4
	s_mov_b32 s0, 0
.LBB19_19:                              ; =>This Inner Loop Header: Depth=1
	s_waitcnt vmcnt(0)
	v_pk_add_f16 v2, v7, v3
	global_atomic_cmpswap v2, v[0:1], v[2:3], off offset:4 glc
	s_waitcnt vmcnt(0)
	v_cmp_eq_u32_e32 vcc_lo, v3, v2
	v_mov_b32_e32 v3, v2
	s_or_b32 s0, vcc_lo, s0
	s_andn2_b32 exec_lo, exec_lo, s0
	s_cbranch_execnz .LBB19_19
.LBB19_20:
	s_endpgm
	.section	.rodata,"a",@progbits
	.p2align	6, 0x0
	.amdhsa_kernel _ZN4vllm4gptq33gemm_half_q_half_gptq_2bit_kernelILb1ELi2EEEvPK6__halfPKjS6_S4_PS2_iiiibPKi
		.amdhsa_group_segment_fixed_size 512
		.amdhsa_private_segment_fixed_size 0
		.amdhsa_kernarg_size 72
		.amdhsa_user_sgpr_count 6
		.amdhsa_user_sgpr_private_segment_buffer 1
		.amdhsa_user_sgpr_dispatch_ptr 0
		.amdhsa_user_sgpr_queue_ptr 0
		.amdhsa_user_sgpr_kernarg_segment_ptr 1
		.amdhsa_user_sgpr_dispatch_id 0
		.amdhsa_user_sgpr_flat_scratch_init 0
		.amdhsa_user_sgpr_private_segment_size 0
		.amdhsa_wavefront_size32 1
		.amdhsa_uses_dynamic_stack 0
		.amdhsa_system_sgpr_private_segment_wavefront_offset 0
		.amdhsa_system_sgpr_workgroup_id_x 1
		.amdhsa_system_sgpr_workgroup_id_y 1
		.amdhsa_system_sgpr_workgroup_id_z 1
		.amdhsa_system_sgpr_workgroup_info 0
		.amdhsa_system_vgpr_workitem_id 0
		.amdhsa_next_free_vgpr 61
		.amdhsa_next_free_sgpr 24
		.amdhsa_reserve_vcc 1
		.amdhsa_reserve_flat_scratch 0
		.amdhsa_float_round_mode_32 0
		.amdhsa_float_round_mode_16_64 0
		.amdhsa_float_denorm_mode_32 3
		.amdhsa_float_denorm_mode_16_64 3
		.amdhsa_dx10_clamp 1
		.amdhsa_ieee_mode 1
		.amdhsa_fp16_overflow 0
		.amdhsa_workgroup_processor_mode 1
		.amdhsa_memory_ordered 1
		.amdhsa_forward_progress 1
		.amdhsa_shared_vgpr_count 0
		.amdhsa_exception_fp_ieee_invalid_op 0
		.amdhsa_exception_fp_denorm_src 0
		.amdhsa_exception_fp_ieee_div_zero 0
		.amdhsa_exception_fp_ieee_overflow 0
		.amdhsa_exception_fp_ieee_underflow 0
		.amdhsa_exception_fp_ieee_inexact 0
		.amdhsa_exception_int_div_zero 0
	.end_amdhsa_kernel
	.section	.text._ZN4vllm4gptq33gemm_half_q_half_gptq_2bit_kernelILb1ELi2EEEvPK6__halfPKjS6_S4_PS2_iiiibPKi,"axG",@progbits,_ZN4vllm4gptq33gemm_half_q_half_gptq_2bit_kernelILb1ELi2EEEvPK6__halfPKjS6_S4_PS2_iiiibPKi,comdat
.Lfunc_end19:
	.size	_ZN4vllm4gptq33gemm_half_q_half_gptq_2bit_kernelILb1ELi2EEEvPK6__halfPKjS6_S4_PS2_iiiibPKi, .Lfunc_end19-_ZN4vllm4gptq33gemm_half_q_half_gptq_2bit_kernelILb1ELi2EEEvPK6__halfPKjS6_S4_PS2_iiiibPKi
                                        ; -- End function
	.set _ZN4vllm4gptq33gemm_half_q_half_gptq_2bit_kernelILb1ELi2EEEvPK6__halfPKjS6_S4_PS2_iiiibPKi.num_vgpr, 61
	.set _ZN4vllm4gptq33gemm_half_q_half_gptq_2bit_kernelILb1ELi2EEEvPK6__halfPKjS6_S4_PS2_iiiibPKi.num_agpr, 0
	.set _ZN4vllm4gptq33gemm_half_q_half_gptq_2bit_kernelILb1ELi2EEEvPK6__halfPKjS6_S4_PS2_iiiibPKi.numbered_sgpr, 24
	.set _ZN4vllm4gptq33gemm_half_q_half_gptq_2bit_kernelILb1ELi2EEEvPK6__halfPKjS6_S4_PS2_iiiibPKi.num_named_barrier, 0
	.set _ZN4vllm4gptq33gemm_half_q_half_gptq_2bit_kernelILb1ELi2EEEvPK6__halfPKjS6_S4_PS2_iiiibPKi.private_seg_size, 0
	.set _ZN4vllm4gptq33gemm_half_q_half_gptq_2bit_kernelILb1ELi2EEEvPK6__halfPKjS6_S4_PS2_iiiibPKi.uses_vcc, 1
	.set _ZN4vllm4gptq33gemm_half_q_half_gptq_2bit_kernelILb1ELi2EEEvPK6__halfPKjS6_S4_PS2_iiiibPKi.uses_flat_scratch, 0
	.set _ZN4vllm4gptq33gemm_half_q_half_gptq_2bit_kernelILb1ELi2EEEvPK6__halfPKjS6_S4_PS2_iiiibPKi.has_dyn_sized_stack, 0
	.set _ZN4vllm4gptq33gemm_half_q_half_gptq_2bit_kernelILb1ELi2EEEvPK6__halfPKjS6_S4_PS2_iiiibPKi.has_recursion, 0
	.set _ZN4vllm4gptq33gemm_half_q_half_gptq_2bit_kernelILb1ELi2EEEvPK6__halfPKjS6_S4_PS2_iiiibPKi.has_indirect_call, 0
	.section	.AMDGPU.csdata,"",@progbits
; Kernel info:
; codeLenInByte = 3272
; TotalNumSgprs: 26
; NumVgprs: 61
; ScratchSize: 0
; MemoryBound: 0
; FloatMode: 240
; IeeeMode: 1
; LDSByteSize: 512 bytes/workgroup (compile time only)
; SGPRBlocks: 0
; VGPRBlocks: 7
; NumSGPRsForWavesPerEU: 26
; NumVGPRsForWavesPerEU: 61
; Occupancy: 16
; WaveLimiterHint : 0
; COMPUTE_PGM_RSRC2:SCRATCH_EN: 0
; COMPUTE_PGM_RSRC2:USER_SGPR: 6
; COMPUTE_PGM_RSRC2:TRAP_HANDLER: 0
; COMPUTE_PGM_RSRC2:TGID_X_EN: 1
; COMPUTE_PGM_RSRC2:TGID_Y_EN: 1
; COMPUTE_PGM_RSRC2:TGID_Z_EN: 1
; COMPUTE_PGM_RSRC2:TIDIG_COMP_CNT: 0
	.section	.text._ZN4vllm4gptq33gemm_half_q_half_gptq_3bit_kernelILb1ELi2EEEvPK6__halfPKjS6_S4_PS2_iiiibPKi,"axG",@progbits,_ZN4vllm4gptq33gemm_half_q_half_gptq_3bit_kernelILb1ELi2EEEvPK6__halfPKjS6_S4_PS2_iiiibPKi,comdat
	.protected	_ZN4vllm4gptq33gemm_half_q_half_gptq_3bit_kernelILb1ELi2EEEvPK6__halfPKjS6_S4_PS2_iiiibPKi ; -- Begin function _ZN4vllm4gptq33gemm_half_q_half_gptq_3bit_kernelILb1ELi2EEEvPK6__halfPKjS6_S4_PS2_iiiibPKi
	.globl	_ZN4vllm4gptq33gemm_half_q_half_gptq_3bit_kernelILb1ELi2EEEvPK6__halfPKjS6_S4_PS2_iiiibPKi
	.p2align	8
	.type	_ZN4vllm4gptq33gemm_half_q_half_gptq_3bit_kernelILb1ELi2EEEvPK6__halfPKjS6_S4_PS2_iiiibPKi,@function
_ZN4vllm4gptq33gemm_half_q_half_gptq_3bit_kernelILb1ELi2EEEvPK6__halfPKjS6_S4_PS2_iiiibPKi: ; @_ZN4vllm4gptq33gemm_half_q_half_gptq_3bit_kernelILb1ELi2EEEvPK6__halfPKjS6_S4_PS2_iiiibPKi
; %bb.0:
	s_load_dwordx4 s[16:19], s[4:5], 0x2c
	s_lshl_b32 s20, s8, 7
	s_load_dwordx8 s[8:15], s[4:5], 0x8
	s_add_i32 s0, s20, 0x80
	s_lshl_b32 s7, s7, 1
	v_cvt_f64_u32_e32 v[1:2], s0
	s_mov_b32 s22, exec_lo
	s_waitcnt lgkmcnt(0)
	v_cvt_f64_i32_e32 v[3:4], s17
	v_min_f64 v[1:2], v[1:2], v[3:4]
	v_cvt_i32_f64_e32 v2, v[1:2]
	v_add_nc_u32_e32 v1, s20, v0
	v_readfirstlane_b32 s21, v2
	v_cmpx_lt_u32_e64 v1, v2
	s_cbranch_execz .LBB20_6
; %bb.1:
	s_clause 0x1
	s_load_dwordx2 s[2:3], s[4:5], 0x40
	s_load_dwordx2 s[0:1], s[4:5], 0x0
	v_mov_b32_e32 v2, 0
	v_lshlrev_b64 v[3:4], 2, v[1:2]
	v_mov_b32_e32 v6, v2
	v_mov_b32_e32 v5, v1
	s_waitcnt lgkmcnt(0)
	v_add_co_u32 v3, vcc_lo, s2, v3
	v_add_co_ci_u32_e64 v4, null, s3, v4, vcc_lo
	s_cmp_lg_u64 s[2:3], 0
	s_cselect_b32 s4, -1, 0
	s_cmp_eq_u64 s[2:3], 0
	s_cbranch_scc1 .LBB20_3
; %bb.2:
	global_load_dword v5, v[3:4], off
	s_waitcnt vmcnt(0)
	v_ashrrev_i32_e32 v6, 31, v5
.LBB20_3:
	s_mul_i32 s2, s7, s17
	v_lshlrev_b64 v[5:6], 1, v[5:6]
	s_ashr_i32 s3, s2, 31
	s_lshl_b64 s[24:25], s[2:3], 1
	s_add_u32 s3, s0, s24
	s_addc_u32 s5, s1, s25
	v_add_co_u32 v5, vcc_lo, s3, v5
	v_add_co_ci_u32_e64 v6, null, s5, v6, vcc_lo
	s_andn2_b32 vcc_lo, exec_lo, s4
	global_load_ushort v6, v[5:6], off
	v_lshlrev_b32_e32 v5, 1, v0
	s_waitcnt vmcnt(0)
	ds_write_b16 v5, v6
	s_cbranch_vccnz .LBB20_5
; %bb.4:
	global_load_dword v1, v[3:4], off
	s_waitcnt vmcnt(0)
	v_ashrrev_i32_e32 v2, 31, v1
.LBB20_5:
	s_add_i32 s2, s2, s17
	v_lshlrev_b64 v[1:2], 1, v[1:2]
	s_ashr_i32 s3, s2, 31
	s_lshl_b64 s[2:3], s[2:3], 1
	s_add_u32 s0, s0, s2
	s_addc_u32 s1, s1, s3
	v_add_co_u32 v1, vcc_lo, s0, v1
	v_add_co_ci_u32_e64 v2, null, s1, v2, vcc_lo
	global_load_ushort v1, v[1:2], off
	s_waitcnt vmcnt(0)
	ds_write_b16 v5, v1 offset:256
.LBB20_6:
	s_or_b32 exec_lo, exec_lo, s22
	v_lshlrev_b32_e32 v0, 2, v0
	s_mov_b32 s0, exec_lo
	v_lshl_add_u32 v12, s6, 9, v0
	v_cmpx_gt_i32_e64 s16, v12
	s_cbranch_execz .LBB20_52
; %bb.7:
	s_abs_i32 s0, s18
	s_abs_i32 s3, s17
	v_cvt_f32_u32_e32 v1, s0
	s_sub_i32 s2, 0, s0
	v_and_b32_e32 v2, 28, v0
	s_waitcnt lgkmcnt(0)
	s_barrier
	v_rcp_iflag_f32_e32 v1, v1
	buffer_gl0_inv
	v_cmp_lt_u32_e32 vcc_lo, 4, v2
                                        ; implicit-def: $vgpr3
                                        ; implicit-def: $vgpr0
	v_mul_f32_e32 v1, 0x4f7ffffe, v1
	v_cvt_u32_f32_e32 v1, v1
	v_readfirstlane_b32 s1, v1
	s_mul_i32 s2, s2, s1
	s_mul_hi_u32 s2, s1, s2
	s_add_i32 s1, s1, s2
	s_xor_b32 s2, s17, s18
	s_mul_hi_u32 s1, s3, s1
	s_ashr_i32 s2, s2, 31
	s_mul_i32 s4, s1, s0
	s_sub_i32 s3, s3, s4
	s_add_i32 s4, s1, 1
	s_sub_i32 s5, s3, s0
	s_cmp_ge_u32 s3, s0
	s_cselect_b32 s1, s4, s1
	s_cselect_b32 s3, s5, s3
	s_add_i32 s4, s1, 1
	s_cmp_ge_u32 s3, s0
	s_cselect_b32 s0, s4, s1
	s_xor_b32 s0, s0, s2
	s_sub_i32 s6, s0, s2
	v_cvt_f32_u32_e32 v1, s6
	s_sub_i32 s1, 0, s6
	v_rcp_iflag_f32_e32 v1, v1
	v_mul_f32_e32 v1, 0x4f7ffffe, v1
	v_cvt_u32_f32_e32 v1, v1
	v_readfirstlane_b32 s0, v1
	s_mul_i32 s1, s1, s0
	s_mul_hi_u32 s1, s0, s1
	s_add_i32 s0, s0, s1
	s_mul_hi_u32 s0, s20, s0
	s_mul_i32 s1, s0, s6
	s_add_i32 s2, s0, 1
	s_sub_i32 s1, s20, s1
	s_sub_i32 s3, s1, s6
	s_cmp_ge_u32 s1, s6
	s_cselect_b32 s0, s2, s0
	s_cselect_b32 s1, s3, s1
	s_add_i32 s2, s0, 1
	s_cmp_ge_u32 s1, s6
	s_cselect_b32 s18, s2, s0
	s_and_saveexec_b32 s0, vcc_lo
	s_xor_b32 s1, exec_lo, s0
	s_cbranch_execz .LBB20_21
; %bb.8:
	s_mov_b32 s2, exec_lo
                                        ; implicit-def: $vgpr3
                                        ; implicit-def: $vgpr0
	v_cmpx_ne_u32_e32 8, v2
	s_xor_b32 s2, exec_lo, s2
	s_cbranch_execz .LBB20_18
; %bb.9:
	s_mov_b32 s3, exec_lo
                                        ; implicit-def: $vgpr3
                                        ; implicit-def: $vgpr0
	v_cmpx_lt_u32_e32 16, v2
	s_xor_b32 s3, exec_lo, s3
	s_cbranch_execz .LBB20_15
; %bb.10:
	v_lshl_add_u32 v0, v12, 1, v12
	s_mul_i32 s4, s18, s16
                                        ; implicit-def: $vgpr3
	s_ashr_i32 s0, s4, 31
	s_lshr_b32 s0, s0, 27
	v_ashrrev_i32_e32 v1, 31, v0
	s_add_i32 s0, s4, s0
	s_ashr_i32 s0, s0, 5
	v_lshrrev_b32_e32 v1, 27, v1
	v_add_nc_u32_e32 v0, v0, v1
	v_ashrrev_i32_e32 v0, 5, v0
	v_mad_u64_u32 v[0:1], null, s0, 3, v[0:1]
	v_ashrrev_i32_e32 v1, 31, v0
	v_lshlrev_b64 v[0:1], 2, v[0:1]
	v_add_co_u32 v0, s0, s10, v0
	v_add_co_ci_u32_e64 v1, null, s11, v1, s0
	v_cmp_ne_u32_e64 s0, 20, v2
	global_load_dword v4, v[0:1], off
	s_and_saveexec_b32 s5, s0
	s_xor_b32 s0, exec_lo, s5
	s_cbranch_execz .LBB20_12
; %bb.11:
	v_mad_u32_u24 v0, v2, 3, 0xffffffc0
	s_waitcnt vmcnt(0)
	v_lshrrev_b32_e32 v3, v0, v4
                                        ; implicit-def: $vgpr0_vgpr1
                                        ; implicit-def: $vgpr4
.LBB20_12:
	s_andn2_saveexec_b32 s0, s0
	s_cbranch_execz .LBB20_14
; %bb.13:
	global_load_dword v0, v[0:1], off offset:4
	s_waitcnt vmcnt(0)
	v_alignbit_b32 v0, v0, v4, 28
	v_and_b32_e32 v3, 0xfff, v0
.LBB20_14:
	s_or_b32 exec_lo, exec_lo, s0
	v_mov_b32_e32 v0, s4
.LBB20_15:
	s_andn2_saveexec_b32 s3, s3
	s_cbranch_execz .LBB20_17
; %bb.16:
	v_lshl_add_u32 v0, v12, 1, v12
	s_mul_i32 s4, s18, s16
	s_ashr_i32 s0, s4, 31
	s_lshr_b32 s0, s0, 27
	v_ashrrev_i32_e32 v1, 31, v0
	s_add_i32 s0, s4, s0
	s_ashr_i32 s0, s0, 5
	v_lshrrev_b32_e32 v1, 27, v1
	v_add_nc_u32_e32 v0, v0, v1
	v_ashrrev_i32_e32 v0, 5, v0
	v_mad_u64_u32 v[0:1], null, s0, 3, v[0:1]
	v_ashrrev_i32_e32 v1, 31, v0
	v_lshlrev_b64 v[0:1], 2, v[0:1]
	v_add_co_u32 v0, s0, s10, v0
	v_add_co_ci_u32_e64 v1, null, s11, v1, s0
	global_load_dword v0, v[0:1], off
	v_mad_u32_u24 v1, v2, 3, 0xffffffe0
	s_waitcnt vmcnt(0)
	v_lshrrev_b32_e32 v3, v1, v0
	v_mov_b32_e32 v0, s4
.LBB20_17:
	s_or_b32 exec_lo, exec_lo, s3
.LBB20_18:
	s_andn2_saveexec_b32 s2, s2
	s_cbranch_execz .LBB20_20
; %bb.19:
	v_lshl_add_u32 v0, v12, 1, v12
	s_mul_i32 s3, s18, s16
	s_ashr_i32 s0, s3, 31
	s_lshr_b32 s0, s0, 27
	v_ashrrev_i32_e32 v1, 31, v0
	s_add_i32 s0, s3, s0
	s_ashr_i32 s0, s0, 5
	v_lshrrev_b32_e32 v1, 27, v1
	v_add_nc_u32_e32 v0, v0, v1
	v_ashrrev_i32_e32 v0, 5, v0
	v_mad_u64_u32 v[0:1], null, s0, 3, v[0:1]
	v_ashrrev_i32_e32 v1, 31, v0
	v_lshlrev_b64 v[0:1], 2, v[0:1]
	v_add_co_u32 v0, s0, s10, v0
	v_add_co_ci_u32_e64 v1, null, s11, v1, s0
	global_load_dwordx2 v[0:1], v[0:1], off
	s_waitcnt vmcnt(0)
	v_perm_b32 v0, v0, v1, 0x2010007
	v_and_b32_e32 v3, 0xfff, v0
	v_mov_b32_e32 v0, s3
.LBB20_20:
	s_or_b32 exec_lo, exec_lo, s2
.LBB20_21:
	s_or_saveexec_b32 s1, s1
	v_lshl_add_u32 v1, v12, 1, v12
	v_mul_u32_u24_e32 v19, 3, v2
	s_waitcnt vmcnt(0)
	v_ashrrev_i32_e32 v4, 31, v1
	s_xor_b32 exec_lo, exec_lo, s1
	s_cbranch_execz .LBB20_23
; %bb.22:
	v_lshrrev_b32_e32 v0, 27, v4
	s_mul_i32 s2, s18, s16
	s_ashr_i32 s0, s2, 31
	s_lshr_b32 s0, s0, 27
	v_add_nc_u32_e32 v0, v1, v0
	s_add_i32 s0, s2, s0
	s_ashr_i32 s0, s0, 5
	v_ashrrev_i32_e32 v0, 5, v0
	v_mad_u64_u32 v[5:6], null, s0, 3, v[0:1]
	v_ashrrev_i32_e32 v6, 31, v5
	v_lshlrev_b64 v[5:6], 2, v[5:6]
	v_add_co_u32 v5, s0, s10, v5
	v_add_co_ci_u32_e64 v6, null, s11, v6, s0
	global_load_dword v0, v[5:6], off
	s_waitcnt vmcnt(0)
	v_lshrrev_b32_e32 v3, v19, v0
	v_mov_b32_e32 v0, s2
.LBB20_23:
	s_or_b32 exec_lo, exec_lo, s1
	v_mov_b32_e32 v22, 0
	v_mov_b32_e32 v21, 0
	;; [unrolled: 1-line block ×4, first 2 shown]
	s_cmp_ge_i32 s20, s21
	s_mov_b32 s22, 0
	s_cbranch_scc1 .LBB20_44
; %bb.24:
	v_add_nc_u32_e32 v5, v0, v12
	v_lshrrev_b32_e32 v0, 27, v4
	v_ashrrev_i32_e32 v13, 31, v12
	s_add_i32 s23, s6, s20
	v_bfe_u32 v27, v3, 9, 3
	v_ashrrev_i32_e32 v6, 31, v5
	v_add_nc_u32_e32 v0, v1, v0
	v_bfe_u32 v28, v3, 6, 3
	v_bfe_u32 v29, v3, 3, 3
	v_and_b32_e32 v30, 7, v3
	v_lshlrev_b64 v[5:6], 1, v[5:6]
	v_ashrrev_i32_e32 v14, 5, v0
	v_lshlrev_b64 v[0:1], 2, v[12:13]
	v_cmp_lt_u32_e64 s1, 16, v2
	v_cmp_ne_u32_e64 s2, 20, v2
	v_mad_u32_u24 v24, v2, 3, 0xffffffc0
	v_add_co_u32 v5, s0, s12, v5
	v_add_co_ci_u32_e64 v6, null, s13, v6, s0
	s_lshr_b32 s0, s20, 5
	v_mad_u32_u24 v25, v2, 3, 0xffffffe0
	s_mul_i32 s0, s0, s16
	global_load_dwordx2 v[17:18], v[5:6], off
	s_mul_i32 s4, s0, 3
	v_mov_b32_e32 v13, 0
	s_ashr_i32 s5, s4, 31
	s_bitcmp1_b32 s19, 0
	v_mov_b32_e32 v26, 0x10001
	s_cselect_b32 s0, -1, 0
	s_lshl_b64 s[4:5], s[4:5], 2
	s_xor_b32 s0, s0, -1
	s_ashr_i32 s17, s16, 31
	s_add_u32 s3, s8, s4
	s_addc_u32 s4, s9, s5
	v_add_co_u32 v15, s3, s3, v0
	v_cndmask_b32_e64 v23, 0, 1, s0
	v_cmp_ne_u32_e64 s0, 8, v2
	v_add_co_ci_u32_e64 v16, null, s4, v1, s3
	v_mov_b32_e32 v20, 0
	v_mov_b32_e32 v21, 0
	;; [unrolled: 1-line block ×3, first 2 shown]
	s_mul_hi_i32 s8, s16, 12
	s_mul_i32 s9, s16, 12
	s_lshl_b64 s[4:5], s[16:17], 2
	s_mov_b32 s17, 0x10001
	s_mov_b32 s19, 0x70007
	;; [unrolled: 1-line block ×4, first 2 shown]
	s_branch .LBB20_27
.LBB20_25:                              ;   in Loop: Header=BB20_27 Depth=1
	s_or_b32 exec_lo, exec_lo, s3
	v_add_nc_u32_e32 v0, s26, v12
	v_and_b32_e32 v30, 7, v2
	v_bfe_u32 v29, v2, 3, 3
	v_bfe_u32 v28, v2, 6, 3
	;; [unrolled: 1-line block ×3, first 2 shown]
	v_ashrrev_i32_e32 v1, 31, v0
	s_add_i32 s23, s23, s6
	v_lshlrev_b64 v[0:1], 1, v[0:1]
	v_add_co_u32 v0, s3, s12, v0
	v_add_co_ci_u32_e64 v1, null, s13, v1, s3
	global_load_dwordx2 v[17:18], v[0:1], off
.LBB20_26:                              ;   in Loop: Header=BB20_27 Depth=1
	v_add_co_u32 v0, s3, v15, s4
	v_add_co_ci_u32_e64 v1, null, s5, v16, s3
	global_load_dwordx4 v[8:11], v[15:16], off
	v_add_nc_u32_e32 v32, v30, v23
	v_add_nc_u32_e32 v33, v29, v23
	global_load_dwordx4 v[4:7], v[0:1], off
	v_add_co_u32 v0, s3, v0, s4
	v_add_co_ci_u32_e64 v1, null, s5, v1, s3
	v_add_nc_u32_e32 v36, v28, v23
	v_add_nc_u32_e32 v37, v27, v23
	v_mov_b32_e32 v31, s22
	global_load_dwordx4 v[0:3], v[0:1], off
	v_cvt_f32_u32_e32 v38, v32
	v_cvt_f32_u32_e32 v39, v33
	;; [unrolled: 1-line block ×3, first 2 shown]
	v_mad_u32_u24 v34, v32, s17, 0xe400e400
	v_mad_u32_u24 v32, v36, s17, 0xe400e400
	v_cvt_f32_u32_e32 v36, v37
	v_cvt_f16_f32_e32 v59, v38
	v_cvt_f16_f32_e32 v60, v39
	;; [unrolled: 1-line block ×3, first 2 shown]
	ds_read2_b32 v[68:69], v31 offset1:1
	ds_read2_b32 v[72:73], v31 offset0:64 offset1:65
	v_mad_u32_u24 v35, v33, s17, 0xe400e400
	v_mad_u32_u24 v33, v37, s17, 0xe400e400
	v_cvt_f16_f32_e32 v62, v36
	v_sub_f16_e32 v36, 0xd800, v59
	v_sub_f16_e32 v37, 0xd800, v60
	;; [unrolled: 1-line block ×3, first 2 shown]
	v_add_co_u32 v15, s3, v15, s9
	v_sub_f16_e32 v39, 0xd800, v62
	v_mul_u32_u24_sdwa v48, v36, v26 dst_sel:DWORD dst_unused:UNUSED_PAD src0_sel:WORD_0 src1_sel:DWORD
	v_mul_u32_u24_sdwa v50, v37, v26 dst_sel:DWORD dst_unused:UNUSED_PAD src0_sel:WORD_0 src1_sel:DWORD
	;; [unrolled: 1-line block ×3, first 2 shown]
	v_add_co_ci_u32_e64 v16, null, s8, v16, s3
	v_mul_u32_u24_sdwa v55, v39, v26 dst_sel:DWORD dst_unused:UNUSED_PAD src0_sel:WORD_0 src1_sel:DWORD
	s_add_i32 s20, s20, 32
	s_add_i32 s22, s22, 64
	s_cmp_ge_i32 s20, s21
	s_waitcnt vmcnt(2)
	v_and_or_b32 v36, v8, s19, 0x64006400
	v_and_or_b32 v37, v8, s24, 0x64006400
	v_lshrrev_b32_e32 v64, 6, v8
	v_lshrrev_b32_e32 v49, 15, v8
	v_and_or_b32 v8, v9, s19, 0x64006400
	v_and_or_b32 v38, v9, s24, 0x64006400
	v_lshrrev_b32_e32 v75, 6, v9
	v_lshrrev_b32_e32 v51, 15, v9
	;; [unrolled: 4-line block ×3, first 2 shown]
	v_and_or_b32 v10, v11, s19, 0x64006400
	v_and_or_b32 v40, v11, s24, 0x64006400
	v_pk_add_f16 v76, v34, v36
	v_pk_add_f16 v86, v35, v8
	;; [unrolled: 1-line block ×3, first 2 shown]
	v_pk_fma_f16 v77, 0x3000, v37, v48 op_sel_hi:[0,1,1]
	v_pk_fma_f16 v87, 0x3000, v38, v50 op_sel_hi:[0,1,1]
	;; [unrolled: 1-line block ×3, first 2 shown]
	v_pk_add_f16 v90, v33, v10
	v_pk_fma_f16 v91, 0x3000, v40, v55 op_sel_hi:[0,1,1]
	s_waitcnt vmcnt(1)
	v_and_or_b32 v39, v4, s19, 0x64006400
	v_and_or_b32 v74, v4, s24, 0x64006400
	v_lshrrev_b32_e32 v40, 6, v4
	v_lshrrev_b32_e32 v63, 14, v4
	v_and_or_b32 v41, v5, s19, 0x64006400
	v_and_or_b32 v79, v5, s24, 0x64006400
	v_lshrrev_b32_e32 v42, 6, v5
	v_lshrrev_b32_e32 v67, 14, v5
	;; [unrolled: 4-line block ×3, first 2 shown]
	s_waitcnt vmcnt(0)
	v_and_or_b32 v44, v0, s19, 0x64006400
	v_and_or_b32 v65, v0, s24, 0x64006400
	v_lshrrev_b32_e32 v46, 6, v0
	v_lshrrev_b32_e32 v81, 13, v0
	v_and_or_b32 v45, v1, s19, 0x64006400
	v_and_or_b32 v56, v1, s24, 0x64006400
	v_lshrrev_b32_e32 v47, 6, v1
	v_lshrrev_b32_e32 v71, 13, v1
	ds_read2_b32 v[0:1], v31 offset0:2 offset1:3
	s_waitcnt lgkmcnt(2)
	v_pk_fma_f16 v4, v76, v68, 0
	v_pk_fma_f16 v5, v86, v68, 0
	;; [unrolled: 1-line block ×3, first 2 shown]
	v_lshrrev_b32_e32 v84, 6, v11
	v_lshrrev_b32_e32 v54, 15, v11
	v_and_or_b32 v9, v7, s19, 0x64006400
	v_and_or_b32 v85, v7, s24, 0x64006400
	v_lshrrev_b32_e32 v10, 6, v7
	v_lshrrev_b32_e32 v80, 14, v7
	v_and_or_b32 v11, v2, s19, 0x64006400
	v_and_or_b32 v58, v2, s24, 0x64006400
	;; [unrolled: 4-line block ×3, first 2 shown]
	v_lshrrev_b32_e32 v38, 6, v3
	v_lshrrev_b32_e32 v66, 13, v3
	v_pk_fma_f16 v2, v90, v68, 0
	v_pk_fma_f16 v3, v77, v69, v4
	;; [unrolled: 1-line block ×4, first 2 shown]
	ds_read2_b32 v[5:6], v31 offset0:66 offset1:67
	v_pk_fma_f16 v2, v91, v69, v2
	s_waitcnt lgkmcnt(2)
	v_pk_fma_f16 v69, v86, v72, 0
	v_pk_fma_f16 v68, v76, v72, 0
	;; [unrolled: 1-line block ×3, first 2 shown]
	v_and_or_b32 v88, v82, s19, 0x64006400
	v_pk_fma_f16 v72, v90, v72, 0
	v_pk_fma_f16 v69, v87, v73, v69
	v_and_or_b32 v87, v75, s19, 0x64006400
	v_pk_fma_f16 v68, v77, v73, v68
	v_and_or_b32 v77, v64, s19, 0x64006400
	;; [unrolled: 2-line block ×3, first 2 shown]
	v_pk_add_f16 v87, v35, v87
	v_and_b32_e32 v63, 0x20002, v63
	v_pk_add_f16 v77, v34, v77
	v_and_or_b32 v86, v64, s24, 0x64006400
	v_pk_fma_f16 v89, 0x3000, v89, v53 op_sel_hi:[0,1,1]
	s_waitcnt lgkmcnt(1)
	v_pk_fma_f16 v4, v87, v0, v4
	v_pk_fma_f16 v72, v91, v73, v72
	s_waitcnt lgkmcnt(0)
	v_pk_fma_f16 v87, v87, v5, v69
	v_pk_add_f16 v69, v32, v88
	v_pk_fma_f16 v90, v77, v0, v3
	v_pk_fma_f16 v77, v77, v5, v68
	v_and_or_b32 v68, v84, s24, 0x64006400
	v_and_or_b32 v3, v84, s19, 0x64006400
	v_pk_fma_f16 v7, v69, v0, v7
	v_and_b32_e32 v67, 0x20002, v67
	v_and_or_b32 v49, 0x10001, v49, v63
	v_pk_fma_f16 v91, 0x3000, v68, v55 op_sel_hi:[0,1,1]
	v_and_b32_e32 v63, 0x20002, v80
	v_pk_fma_f16 v68, v89, v1, v7
	v_sub_f16_e32 v7, 0xcc00, v59
	v_sub_f16_e32 v59, 0xcc00, v60
	v_sub_f16_e32 v60, 0xcc00, v61
	v_and_or_b32 v73, v75, s24, 0x64006400
	v_pk_fma_f16 v86, 0x3000, v86, v48 op_sel_hi:[0,1,1]
	v_pk_add_f16 v3, v33, v3
	v_sub_f16_e32 v61, 0xcc00, v62
	v_mul_u32_u24_sdwa v95, v60, v26 dst_sel:DWORD dst_unused:UNUSED_PAD src0_sel:WORD_0 src1_sel:DWORD
	v_and_or_b32 v60, v75, s25, 0x64006400
	v_and_b32_e32 v75, 0x20002, v78
	v_and_or_b32 v51, 0x10001, v51, v67
	v_and_b32_e32 v67, 0x40004, v81
	v_and_or_b32 v81, 0x10001, v54, v63
	v_and_or_b32 v54, v46, s24, 0x64006400
	v_pk_fma_f16 v88, 0x3000, v73, v50 op_sel_hi:[0,1,1]
	v_pk_fma_f16 v92, v69, v5, v76
	v_pk_fma_f16 v93, v3, v5, v72
	;; [unrolled: 1-line block ×3, first 2 shown]
	v_mul_u32_u24_sdwa v90, v7, v26 dst_sel:DWORD dst_unused:UNUSED_PAD src0_sel:WORD_0 src1_sel:DWORD
	v_mul_u32_u24_sdwa v94, v59, v26 dst_sel:DWORD dst_unused:UNUSED_PAD src0_sel:WORD_0 src1_sel:DWORD
	;; [unrolled: 1-line block ×3, first 2 shown]
	v_and_or_b32 v59, v64, s25, 0x64006400
	v_and_or_b32 v62, v84, s25, 0x64006400
	;; [unrolled: 1-line block ×4, first 2 shown]
	v_pk_fma_f16 v52, 0x3000, v65, v48 op_sel_hi:[0,1,1]
	v_or3_b32 v80, v49, v67, 0x64006400
	v_and_or_b32 v65, v46, s25, 0x64006400
	v_pk_fma_f16 v49, 0x3000, v54, v48 op_sel_hi:[0,1,1]
	v_and_b32_e32 v54, 0x40004, v71
	v_pk_fma_f16 v0, v3, v0, v2
	ds_read2_b32 v[2:3], v31 offset0:4 offset1:5
	v_pk_fma_f16 v73, v88, v1, v4
	v_pk_fma_f16 v76, v86, v6, v77
	;; [unrolled: 1-line block ×3, first 2 shown]
	ds_read2_b32 v[4:5], v31 offset0:68 offset1:69
	v_and_or_b32 v61, v82, s25, 0x64006400
	v_pk_fma_f16 v82, v89, v6, v92
	v_pk_fma_f16 v88, 0x2400, v59, v90 op_sel_hi:[0,1,1]
	v_pk_fma_f16 v89, 0x2400, v60, v94 op_sel_hi:[0,1,1]
	;; [unrolled: 1-line block ×6, first 2 shown]
	v_and_or_b32 v74, v40, s25, 0x64006400
	v_and_or_b32 v78, v42, s24, 0x64006400
	v_and_or_b32 v79, v42, s25, 0x64006400
	v_pk_fma_f16 v64, 0x3000, v64, v48 op_sel_hi:[0,1,1]
	v_and_or_b32 v85, v43, s25, 0x64006400
	v_pk_fma_f16 v48, 0x2400, v65, v90 op_sel_hi:[0,1,1]
	v_and_or_b32 v65, v47, s24, 0x64006400
	v_or3_b32 v92, v51, v54, 0x64006400
	v_and_or_b32 v54, v47, s25, 0x64006400
	v_and_b32_e32 v71, 0x40004, v70
	v_and_b32_e32 v66, 0x40004, v66
	v_pk_fma_f16 v86, 0x2400, v61, v95 op_sel_hi:[0,1,1]
	v_pk_fma_f16 v61, 0x3000, v83, v53 op_sel_hi:[0,1,1]
	v_and_or_b32 v83, v43, s24, 0x64006400
	v_pk_fma_f16 v63, 0x2400, v74, v90 op_sel_hi:[0,1,1]
	v_pk_fma_f16 v67, 0x3000, v78, v50 op_sel_hi:[0,1,1]
	;; [unrolled: 1-line block ×4, first 2 shown]
	v_and_or_b32 v74, v10, s24, 0x64006400
	v_pk_fma_f16 v65, 0x2400, v79, v94 op_sel_hi:[0,1,1]
	v_pk_fma_f16 v50, 0x2400, v54, v94 op_sel_hi:[0,1,1]
	v_and_or_b32 v54, v37, s24, 0x64006400
	v_or3_b32 v78, v75, v71, 0x64006400
	v_and_or_b32 v75, v37, s25, 0x64006400
	v_pk_fma_f16 v71, 0x2400, v85, v95 op_sel_hi:[0,1,1]
	v_and_or_b32 v85, v38, s24, 0x64006400
	v_or3_b32 v79, v81, v66, 0x64006400
	v_and_or_b32 v81, v38, s25, 0x64006400
	v_and_or_b32 v40, v40, s19, 0x64006400
	v_pk_fma_f16 v69, v91, v1, v0
	ds_read2_b32 v[0:1], v31 offset0:6 offset1:7
	v_pk_fma_f16 v84, v91, v6, v93
	ds_read2_b32 v[6:7], v31 offset0:70 offset1:71
	v_pk_fma_f16 v70, 0x3000, v83, v53 op_sel_hi:[0,1,1]
	v_pk_fma_f16 v58, 0x3000, v58, v53 op_sel_hi:[0,1,1]
	;; [unrolled: 1-line block ×3, first 2 shown]
	v_and_or_b32 v83, v10, s25, 0x64006400
	v_pk_fma_f16 v53, 0x2400, v75, v95 op_sel_hi:[0,1,1]
	v_pk_fma_f16 v75, 0x3000, v74, v55 op_sel_hi:[0,1,1]
	;; [unrolled: 1-line block ×5, first 2 shown]
	v_pk_add_f16 v81, v34, v39
	v_and_or_b32 v39, v42, s19, 0x64006400
	v_and_or_b32 v42, v43, s19, 0x64006400
	v_pk_add_f16 v43, v34, v40
	v_and_or_b32 v40, v46, s19, 0x64006400
	v_pk_fma_f16 v74, 0x2400, v83, v96 op_sel_hi:[0,1,1]
	v_and_or_b32 v46, v47, s19, 0x64006400
	v_pk_add_f16 v44, v34, v44
	v_pk_add_f16 v85, v33, v9
	;; [unrolled: 1-line block ×5, first 2 shown]
	v_and_or_b32 v8, v10, s19, 0x64006400
	v_and_or_b32 v9, v37, s19, 0x64006400
	;; [unrolled: 1-line block ×3, first 2 shown]
	ds_read2_b32 v[90:91], v31 offset0:8 offset1:9
	v_pk_add_f16 v41, v35, v41
	v_pk_add_f16 v47, v35, v39
	;; [unrolled: 1-line block ×5, first 2 shown]
	ds_read2_b32 v[39:40], v31 offset0:10 offset1:11
	v_pk_add_f16 v92, v32, v42
	v_pk_add_f16 v38, v33, v8
	;; [unrolled: 1-line block ×8, first 2 shown]
	ds_read2_b32 v[8:9], v31 offset0:12 offset1:13
	ds_read2_b32 v[10:11], v31 offset0:14 offset1:15
	s_waitcnt lgkmcnt(7)
	v_pk_fma_f16 v36, v88, v2, v72
	v_pk_fma_f16 v37, v89, v2, v73
	s_waitcnt lgkmcnt(6)
	v_pk_fma_f16 v42, v88, v4, v76
	v_pk_fma_f16 v72, v89, v4, v77
	;; [unrolled: 1-line block ×6, first 2 shown]
	ds_read2_b32 v[32:33], v31 offset0:72 offset1:73
	v_pk_fma_f16 v73, v81, v3, v36
	v_pk_fma_f16 v76, v41, v3, v37
	;; [unrolled: 1-line block ×8, first 2 shown]
	ds_read2_b32 v[2:3], v31 offset0:74 offset1:75
	ds_read2_b32 v[36:37], v31 offset0:76 offset1:77
	;; [unrolled: 1-line block ×3, first 2 shown]
	s_waitcnt lgkmcnt(9)
	v_pk_fma_f16 v5, v59, v0, v73
	v_pk_fma_f16 v31, v60, v0, v76
	;; [unrolled: 1-line block ×4, first 2 shown]
	s_waitcnt lgkmcnt(8)
	v_pk_fma_f16 v59, v59, v6, v81
	v_pk_fma_f16 v60, v60, v6, v72
	;; [unrolled: 1-line block ×12, first 2 shown]
	s_waitcnt lgkmcnt(7)
	v_pk_fma_f16 v5, v64, v90, v5
	v_pk_fma_f16 v6, v67, v90, v6
	v_pk_fma_f16 v7, v70, v90, v31
	v_pk_fma_f16 v0, v75, v90, v0
	s_waitcnt lgkmcnt(3)
	v_pk_fma_f16 v1, v64, v32, v1
	v_pk_fma_f16 v31, v67, v32, v43
	v_pk_fma_f16 v38, v70, v32, v47
	v_pk_fma_f16 v4, v75, v32, v4
	v_pk_fma_f16 v5, v63, v91, v5
	v_pk_fma_f16 v6, v65, v91, v6
	v_pk_fma_f16 v7, v71, v91, v7
	v_pk_fma_f16 v0, v74, v91, v0
	v_pk_fma_f16 v1, v63, v33, v1
	v_pk_fma_f16 v31, v65, v33, v31
	v_pk_fma_f16 v32, v71, v33, v38
	v_pk_fma_f16 v4, v74, v33, v4
	v_pk_fma_f16 v5, v44, v39, v5
	v_pk_fma_f16 v6, v45, v39, v6
	v_pk_fma_f16 v7, v93, v39, v7
	v_pk_fma_f16 v0, v94, v39, v0
	s_waitcnt lgkmcnt(2)
	v_pk_fma_f16 v1, v44, v2, v1
	v_pk_fma_f16 v31, v45, v2, v31
	v_pk_fma_f16 v32, v93, v2, v32
	v_pk_fma_f16 v2, v94, v2, v4
	v_pk_fma_f16 v4, v52, v40, v5
	v_pk_fma_f16 v5, v56, v40, v6
	v_pk_fma_f16 v6, v58, v40, v7
	v_pk_fma_f16 v0, v66, v40, v0
	v_pk_fma_f16 v1, v52, v3, v1
	v_pk_fma_f16 v7, v56, v3, v31
	v_pk_fma_f16 v31, v58, v3, v32
	v_pk_fma_f16 v2, v66, v3, v2
	;; [unrolled: 17-line block ×4, first 2 shown]
	v_pack_b32_f16 v8, v3, v4
	v_perm_b32 v3, v4, v3, 0x7060302
	v_pack_b32_f16 v4, v1, v6
	v_perm_b32 v1, v6, v1, 0x7060302
	;; [unrolled: 2-line block ×4, first 2 shown]
	v_pk_add_f16 v3, v8, v3
	v_pk_add_f16 v1, v4, v1
	;; [unrolled: 1-line block ×4, first 2 shown]
	v_pk_fma_f16 v22, v3, v17, v22
	v_pk_fma_f16 v20, v1, v17, v20
	;; [unrolled: 1-line block ×4, first 2 shown]
	s_cbranch_scc1 .LBB20_44
.LBB20_27:                              ; =>This Inner Loop Header: Depth=1
	s_cmp_lg_u32 s20, s23
	s_cbranch_scc1 .LBB20_26
; %bb.28:                               ;   in Loop: Header=BB20_27 Depth=1
	s_add_i32 s18, s18, 1
                                        ; implicit-def: $vgpr2
	s_mul_i32 s26, s18, s16
	s_ashr_i32 s3, s26, 31
	s_lshr_b32 s3, s3, 27
	s_add_i32 s3, s26, s3
	s_ashr_i32 s3, s3, 5
	v_mad_u64_u32 v[0:1], null, s3, 3, v[14:15]
	v_ashrrev_i32_e32 v1, 31, v0
	v_lshlrev_b64 v[0:1], 2, v[0:1]
	v_add_co_u32 v0, s3, s10, v0
	v_add_co_ci_u32_e64 v1, null, s11, v1, s3
	global_load_dword v3, v[0:1], off
	s_and_saveexec_b32 s3, vcc_lo
	s_xor_b32 s3, exec_lo, s3
	s_cbranch_execz .LBB20_42
; %bb.29:                               ;   in Loop: Header=BB20_27 Depth=1
                                        ; implicit-def: $vgpr2
	s_and_saveexec_b32 s27, s0
	s_xor_b32 s27, exec_lo, s27
	s_cbranch_execz .LBB20_39
; %bb.30:                               ;   in Loop: Header=BB20_27 Depth=1
                                        ; implicit-def: $vgpr2
	s_and_saveexec_b32 s28, s1
	;; [unrolled: 5-line block ×3, first 2 shown]
	s_xor_b32 s29, exec_lo, s29
	s_cbranch_execz .LBB20_33
; %bb.32:                               ;   in Loop: Header=BB20_27 Depth=1
	s_waitcnt vmcnt(0)
	v_lshrrev_b32_e32 v2, v24, v3
                                        ; implicit-def: $vgpr0_vgpr1
                                        ; implicit-def: $vgpr3
.LBB20_33:                              ;   in Loop: Header=BB20_27 Depth=1
	s_andn2_saveexec_b32 s29, s29
	s_cbranch_execz .LBB20_35
; %bb.34:                               ;   in Loop: Header=BB20_27 Depth=1
	global_load_dword v0, v[0:1], off offset:4
	s_waitcnt vmcnt(0)
	v_alignbit_b32 v0, v0, v3, 28
	v_and_b32_e32 v2, 0xfff, v0
.LBB20_35:                              ;   in Loop: Header=BB20_27 Depth=1
	s_or_b32 exec_lo, exec_lo, s29
                                        ; implicit-def: $vgpr3
.LBB20_36:                              ;   in Loop: Header=BB20_27 Depth=1
	s_andn2_saveexec_b32 s28, s28
	s_cbranch_execz .LBB20_38
; %bb.37:                               ;   in Loop: Header=BB20_27 Depth=1
	s_waitcnt vmcnt(0)
	v_lshrrev_b32_e32 v2, v25, v3
.LBB20_38:                              ;   in Loop: Header=BB20_27 Depth=1
	s_or_b32 exec_lo, exec_lo, s28
                                        ; implicit-def: $vgpr0_vgpr1
                                        ; implicit-def: $vgpr3
.LBB20_39:                              ;   in Loop: Header=BB20_27 Depth=1
	s_andn2_saveexec_b32 s27, s27
	s_cbranch_execz .LBB20_41
; %bb.40:                               ;   in Loop: Header=BB20_27 Depth=1
	global_load_dword v0, v[0:1], off offset:4
	s_waitcnt vmcnt(0)
	v_perm_b32 v0, v3, v0, 0x2010007
	v_and_b32_e32 v2, 0xfff, v0
.LBB20_41:                              ;   in Loop: Header=BB20_27 Depth=1
	s_or_b32 exec_lo, exec_lo, s27
                                        ; implicit-def: $vgpr3
.LBB20_42:                              ;   in Loop: Header=BB20_27 Depth=1
	s_andn2_saveexec_b32 s3, s3
	s_cbranch_execz .LBB20_25
; %bb.43:                               ;   in Loop: Header=BB20_27 Depth=1
	s_waitcnt vmcnt(0)
	v_lshrrev_b32_e32 v2, v19, v3
	s_branch .LBB20_25
.LBB20_44:
	v_mad_u64_u32 v[0:1], null, s7, s16, v[12:13]
	s_mov_b32 s0, 0
	v_ashrrev_i32_e32 v1, 31, v0
	v_lshlrev_b64 v[1:2], 1, v[0:1]
	v_add_co_u32 v1, vcc_lo, s14, v1
	v_add_co_ci_u32_e64 v2, null, s15, v2, vcc_lo
	global_load_dword v4, v[1:2], off
.LBB20_45:                              ; =>This Inner Loop Header: Depth=1
	s_waitcnt vmcnt(0)
	v_pk_add_f16 v3, v22, v4
	global_atomic_cmpswap v3, v[1:2], v[3:4], off glc
	s_waitcnt vmcnt(0)
	v_cmp_eq_u32_e32 vcc_lo, v4, v3
	v_mov_b32_e32 v4, v3
	s_or_b32 s0, vcc_lo, s0
	s_andn2_b32 exec_lo, exec_lo, s0
	s_cbranch_execnz .LBB20_45
; %bb.46:
	s_or_b32 exec_lo, exec_lo, s0
	global_load_dword v4, v[1:2], off offset:4
	s_mov_b32 s0, 0
.LBB20_47:                              ; =>This Inner Loop Header: Depth=1
	s_waitcnt vmcnt(0)
	v_pk_add_f16 v3, v21, v4
	global_atomic_cmpswap v3, v[1:2], v[3:4], off offset:4 glc
	s_waitcnt vmcnt(0)
	v_cmp_eq_u32_e32 vcc_lo, v4, v3
	v_mov_b32_e32 v4, v3
	s_or_b32 s0, vcc_lo, s0
	s_andn2_b32 exec_lo, exec_lo, s0
	s_cbranch_execnz .LBB20_47
; %bb.48:
	s_or_b32 exec_lo, exec_lo, s0
	v_add_nc_u32_e32 v0, s16, v0
	s_mov_b32 s0, 0
	v_ashrrev_i32_e32 v1, 31, v0
	v_lshlrev_b64 v[0:1], 1, v[0:1]
	v_add_co_u32 v0, vcc_lo, s14, v0
	v_add_co_ci_u32_e64 v1, null, s15, v1, vcc_lo
	global_load_dword v3, v[0:1], off
.LBB20_49:                              ; =>This Inner Loop Header: Depth=1
	s_waitcnt vmcnt(0)
	v_pk_add_f16 v2, v20, v3
	global_atomic_cmpswap v2, v[0:1], v[2:3], off glc
	s_waitcnt vmcnt(0)
	v_cmp_eq_u32_e32 vcc_lo, v3, v2
	v_mov_b32_e32 v3, v2
	s_or_b32 s0, vcc_lo, s0
	s_andn2_b32 exec_lo, exec_lo, s0
	s_cbranch_execnz .LBB20_49
; %bb.50:
	s_or_b32 exec_lo, exec_lo, s0
	global_load_dword v3, v[0:1], off offset:4
	s_mov_b32 s0, 0
.LBB20_51:                              ; =>This Inner Loop Header: Depth=1
	s_waitcnt vmcnt(0)
	v_pk_add_f16 v2, v13, v3
	global_atomic_cmpswap v2, v[0:1], v[2:3], off offset:4 glc
	s_waitcnt vmcnt(0)
	v_cmp_eq_u32_e32 vcc_lo, v3, v2
	v_mov_b32_e32 v3, v2
	s_or_b32 s0, vcc_lo, s0
	s_andn2_b32 exec_lo, exec_lo, s0
	s_cbranch_execnz .LBB20_51
.LBB20_52:
	s_endpgm
	.section	.rodata,"a",@progbits
	.p2align	6, 0x0
	.amdhsa_kernel _ZN4vllm4gptq33gemm_half_q_half_gptq_3bit_kernelILb1ELi2EEEvPK6__halfPKjS6_S4_PS2_iiiibPKi
		.amdhsa_group_segment_fixed_size 512
		.amdhsa_private_segment_fixed_size 0
		.amdhsa_kernarg_size 72
		.amdhsa_user_sgpr_count 6
		.amdhsa_user_sgpr_private_segment_buffer 1
		.amdhsa_user_sgpr_dispatch_ptr 0
		.amdhsa_user_sgpr_queue_ptr 0
		.amdhsa_user_sgpr_kernarg_segment_ptr 1
		.amdhsa_user_sgpr_dispatch_id 0
		.amdhsa_user_sgpr_flat_scratch_init 0
		.amdhsa_user_sgpr_private_segment_size 0
		.amdhsa_wavefront_size32 1
		.amdhsa_uses_dynamic_stack 0
		.amdhsa_system_sgpr_private_segment_wavefront_offset 0
		.amdhsa_system_sgpr_workgroup_id_x 1
		.amdhsa_system_sgpr_workgroup_id_y 1
		.amdhsa_system_sgpr_workgroup_id_z 1
		.amdhsa_system_sgpr_workgroup_info 0
		.amdhsa_system_vgpr_workitem_id 0
		.amdhsa_next_free_vgpr 97
		.amdhsa_next_free_sgpr 30
		.amdhsa_reserve_vcc 1
		.amdhsa_reserve_flat_scratch 0
		.amdhsa_float_round_mode_32 0
		.amdhsa_float_round_mode_16_64 0
		.amdhsa_float_denorm_mode_32 3
		.amdhsa_float_denorm_mode_16_64 3
		.amdhsa_dx10_clamp 1
		.amdhsa_ieee_mode 1
		.amdhsa_fp16_overflow 0
		.amdhsa_workgroup_processor_mode 1
		.amdhsa_memory_ordered 1
		.amdhsa_forward_progress 1
		.amdhsa_shared_vgpr_count 0
		.amdhsa_exception_fp_ieee_invalid_op 0
		.amdhsa_exception_fp_denorm_src 0
		.amdhsa_exception_fp_ieee_div_zero 0
		.amdhsa_exception_fp_ieee_overflow 0
		.amdhsa_exception_fp_ieee_underflow 0
		.amdhsa_exception_fp_ieee_inexact 0
		.amdhsa_exception_int_div_zero 0
	.end_amdhsa_kernel
	.section	.text._ZN4vllm4gptq33gemm_half_q_half_gptq_3bit_kernelILb1ELi2EEEvPK6__halfPKjS6_S4_PS2_iiiibPKi,"axG",@progbits,_ZN4vllm4gptq33gemm_half_q_half_gptq_3bit_kernelILb1ELi2EEEvPK6__halfPKjS6_S4_PS2_iiiibPKi,comdat
.Lfunc_end20:
	.size	_ZN4vllm4gptq33gemm_half_q_half_gptq_3bit_kernelILb1ELi2EEEvPK6__halfPKjS6_S4_PS2_iiiibPKi, .Lfunc_end20-_ZN4vllm4gptq33gemm_half_q_half_gptq_3bit_kernelILb1ELi2EEEvPK6__halfPKjS6_S4_PS2_iiiibPKi
                                        ; -- End function
	.set _ZN4vllm4gptq33gemm_half_q_half_gptq_3bit_kernelILb1ELi2EEEvPK6__halfPKjS6_S4_PS2_iiiibPKi.num_vgpr, 97
	.set _ZN4vllm4gptq33gemm_half_q_half_gptq_3bit_kernelILb1ELi2EEEvPK6__halfPKjS6_S4_PS2_iiiibPKi.num_agpr, 0
	.set _ZN4vllm4gptq33gemm_half_q_half_gptq_3bit_kernelILb1ELi2EEEvPK6__halfPKjS6_S4_PS2_iiiibPKi.numbered_sgpr, 30
	.set _ZN4vllm4gptq33gemm_half_q_half_gptq_3bit_kernelILb1ELi2EEEvPK6__halfPKjS6_S4_PS2_iiiibPKi.num_named_barrier, 0
	.set _ZN4vllm4gptq33gemm_half_q_half_gptq_3bit_kernelILb1ELi2EEEvPK6__halfPKjS6_S4_PS2_iiiibPKi.private_seg_size, 0
	.set _ZN4vllm4gptq33gemm_half_q_half_gptq_3bit_kernelILb1ELi2EEEvPK6__halfPKjS6_S4_PS2_iiiibPKi.uses_vcc, 1
	.set _ZN4vllm4gptq33gemm_half_q_half_gptq_3bit_kernelILb1ELi2EEEvPK6__halfPKjS6_S4_PS2_iiiibPKi.uses_flat_scratch, 0
	.set _ZN4vllm4gptq33gemm_half_q_half_gptq_3bit_kernelILb1ELi2EEEvPK6__halfPKjS6_S4_PS2_iiiibPKi.has_dyn_sized_stack, 0
	.set _ZN4vllm4gptq33gemm_half_q_half_gptq_3bit_kernelILb1ELi2EEEvPK6__halfPKjS6_S4_PS2_iiiibPKi.has_recursion, 0
	.set _ZN4vllm4gptq33gemm_half_q_half_gptq_3bit_kernelILb1ELi2EEEvPK6__halfPKjS6_S4_PS2_iiiibPKi.has_indirect_call, 0
	.section	.AMDGPU.csdata,"",@progbits
; Kernel info:
; codeLenInByte = 5428
; TotalNumSgprs: 32
; NumVgprs: 97
; ScratchSize: 0
; MemoryBound: 0
; FloatMode: 240
; IeeeMode: 1
; LDSByteSize: 512 bytes/workgroup (compile time only)
; SGPRBlocks: 0
; VGPRBlocks: 12
; NumSGPRsForWavesPerEU: 32
; NumVGPRsForWavesPerEU: 97
; Occupancy: 9
; WaveLimiterHint : 0
; COMPUTE_PGM_RSRC2:SCRATCH_EN: 0
; COMPUTE_PGM_RSRC2:USER_SGPR: 6
; COMPUTE_PGM_RSRC2:TRAP_HANDLER: 0
; COMPUTE_PGM_RSRC2:TGID_X_EN: 1
; COMPUTE_PGM_RSRC2:TGID_Y_EN: 1
; COMPUTE_PGM_RSRC2:TGID_Z_EN: 1
; COMPUTE_PGM_RSRC2:TIDIG_COMP_CNT: 0
	.section	.text._ZN4vllm4gptq33gemm_half_q_half_gptq_4bit_kernelILb1ELi2EEEvPK6__halfPKjS6_S4_PS2_iiiibPKi,"axG",@progbits,_ZN4vllm4gptq33gemm_half_q_half_gptq_4bit_kernelILb1ELi2EEEvPK6__halfPKjS6_S4_PS2_iiiibPKi,comdat
	.protected	_ZN4vllm4gptq33gemm_half_q_half_gptq_4bit_kernelILb1ELi2EEEvPK6__halfPKjS6_S4_PS2_iiiibPKi ; -- Begin function _ZN4vllm4gptq33gemm_half_q_half_gptq_4bit_kernelILb1ELi2EEEvPK6__halfPKjS6_S4_PS2_iiiibPKi
	.globl	_ZN4vllm4gptq33gemm_half_q_half_gptq_4bit_kernelILb1ELi2EEEvPK6__halfPKjS6_S4_PS2_iiiibPKi
	.p2align	8
	.type	_ZN4vllm4gptq33gemm_half_q_half_gptq_4bit_kernelILb1ELi2EEEvPK6__halfPKjS6_S4_PS2_iiiibPKi,@function
_ZN4vllm4gptq33gemm_half_q_half_gptq_4bit_kernelILb1ELi2EEEvPK6__halfPKjS6_S4_PS2_iiiibPKi: ; @_ZN4vllm4gptq33gemm_half_q_half_gptq_4bit_kernelILb1ELi2EEEvPK6__halfPKjS6_S4_PS2_iiiibPKi
; %bb.0:
	s_load_dwordx4 s[0:3], s[4:5], 0x2c
	s_lshl_b32 s18, s8, 7
	s_lshl_b32 s7, s7, 1
	s_add_i32 s8, s18, 0x80
	s_mov_b32 s20, exec_lo
	v_cvt_f64_u32_e32 v[1:2], s8
	s_load_dwordx8 s[8:15], s[4:5], 0x8
	s_waitcnt lgkmcnt(0)
	v_cvt_f64_i32_e32 v[3:4], s1
	v_min_f64 v[1:2], v[1:2], v[3:4]
	v_cvt_i32_f64_e32 v2, v[1:2]
	v_add_nc_u32_e32 v1, s18, v0
	v_readfirstlane_b32 s19, v2
	v_cmpx_lt_u32_e64 v1, v2
	s_cbranch_execz .LBB21_6
; %bb.1:
	s_clause 0x1
	s_load_dwordx2 s[16:17], s[4:5], 0x40
	s_load_dwordx2 s[4:5], s[4:5], 0x0
	v_mov_b32_e32 v2, 0
	v_lshlrev_b64 v[3:4], 2, v[1:2]
	v_mov_b32_e32 v6, v2
	v_mov_b32_e32 v5, v1
	s_waitcnt lgkmcnt(0)
	v_add_co_u32 v3, vcc_lo, s16, v3
	v_add_co_ci_u32_e64 v4, null, s17, v4, vcc_lo
	s_cmp_lg_u64 s[16:17], 0
	s_cselect_b32 s21, -1, 0
	s_cmp_eq_u64 s[16:17], 0
	s_cbranch_scc1 .LBB21_3
; %bb.2:
	global_load_dword v5, v[3:4], off
	s_waitcnt vmcnt(0)
	v_ashrrev_i32_e32 v6, 31, v5
.LBB21_3:
	s_mul_i32 s16, s7, s1
	v_lshlrev_b64 v[5:6], 1, v[5:6]
	s_ashr_i32 s17, s16, 31
	s_lshl_b64 s[22:23], s[16:17], 1
	s_add_u32 s17, s4, s22
	s_addc_u32 s22, s5, s23
	v_add_co_u32 v5, vcc_lo, s17, v5
	v_add_co_ci_u32_e64 v6, null, s22, v6, vcc_lo
	s_andn2_b32 vcc_lo, exec_lo, s21
	global_load_ushort v6, v[5:6], off
	v_lshlrev_b32_e32 v5, 1, v0
	s_waitcnt vmcnt(0)
	ds_write_b16 v5, v6
	s_cbranch_vccnz .LBB21_5
; %bb.4:
	global_load_dword v1, v[3:4], off
	s_waitcnt vmcnt(0)
	v_ashrrev_i32_e32 v2, 31, v1
.LBB21_5:
	s_add_i32 s16, s16, s1
	v_lshlrev_b64 v[1:2], 1, v[1:2]
	s_ashr_i32 s17, s16, 31
	s_lshl_b64 s[16:17], s[16:17], 1
	s_add_u32 s4, s4, s16
	s_addc_u32 s5, s5, s17
	v_add_co_u32 v1, vcc_lo, s4, v1
	v_add_co_ci_u32_e64 v2, null, s5, v2, vcc_lo
	global_load_ushort v1, v[1:2], off
	s_waitcnt vmcnt(0)
	ds_write_b16 v5, v1 offset:256
.LBB21_6:
	s_or_b32 exec_lo, exec_lo, s20
	v_lshlrev_b32_e32 v1, 2, v0
	s_mov_b32 s4, exec_lo
	v_lshl_add_u32 v1, s6, 9, v1
	v_cmpx_gt_i32_e64 s0, v1
	s_cbranch_execz .LBB21_20
; %bb.7:
	s_abs_i32 s4, s2
	v_mov_b32_e32 v12, 0
	v_cvt_f32_u32_e32 v2, s4
	v_mov_b32_e32 v8, 0
	v_mov_b32_e32 v9, 0
	;; [unrolled: 1-line block ×4, first 2 shown]
	v_rcp_iflag_f32_e32 v2, v2
	v_mov_b32_e32 v14, 0
	v_mov_b32_e32 v16, 0
	;; [unrolled: 1-line block ×3, first 2 shown]
	s_cmp_ge_i32 s18, s19
	s_waitcnt lgkmcnt(0)
	s_barrier
	buffer_gl0_inv
	v_mul_f32_e32 v2, 0x4f7ffffe, v2
	v_cvt_u32_f32_e32 v2, v2
	v_readfirstlane_b32 s5, v2
	s_cbranch_scc1 .LBB21_12
; %bb.8:
	s_sub_i32 s6, 0, s4
	s_abs_i32 s16, s1
	s_mul_i32 s6, s6, s5
	s_ashr_i32 s1, s1, 31
	s_mul_hi_u32 s6, s5, s6
	s_ashr_i32 s2, s2, 31
	s_add_i32 s5, s5, s6
	s_xor_b32 s1, s1, s2
	s_mul_hi_u32 s5, s16, s5
	s_mov_b32 s20, 0xe400e400
	s_mul_i32 s6, s5, s4
	v_mov_b32_e32 v15, 0
	s_sub_i32 s2, s16, s6
	s_add_i32 s6, s5, 1
	s_sub_i32 s16, s2, s4
	s_cmp_ge_u32 s2, s4
	v_mov_b32_e32 v16, 0
	s_cselect_b32 s5, s6, s5
	s_cselect_b32 s2, s16, s2
	s_add_i32 s6, s5, 1
	s_cmp_ge_u32 s2, s4
	v_mov_b32_e32 v14, 0
	s_cselect_b32 s2, s6, s5
	v_mov_b32_e32 v13, 0
	s_xor_b32 s2, s2, s1
	v_mov_b32_e32 v11, 0
	s_sub_i32 s6, s2, s1
	s_bitcmp1_b32 s3, 0
	v_cvt_f32_u32_e32 v2, s6
	s_cselect_b32 s2, -1, 0
	s_sub_i32 s3, 0, s6
	s_xor_b32 s4, s2, -1
	v_mov_b32_e32 v9, 0
	v_rcp_iflag_f32_e32 v2, v2
	v_cndmask_b32_e64 v18, 0, 1, s4
	v_mov_b32_e32 v8, 0
	s_mov_b32 s17, 0
	v_mul_f32_e32 v2, 0x4f7ffffe, v2
	v_cvt_u32_f32_e32 v2, v2
	v_readfirstlane_b32 s1, v2
	v_ashrrev_i32_e32 v2, 31, v1
	s_mul_i32 s3, s3, s1
	v_lshrrev_b32_e32 v3, 29, v2
	s_mul_hi_u32 s3, s1, s3
	s_add_i32 s1, s1, s3
	v_add_nc_u32_e32 v3, v1, v3
	s_mul_hi_u32 s1, s18, s1
	s_mul_i32 s3, s1, s6
	s_sub_i32 s2, s18, s3
	s_add_i32 s3, s1, 1
	s_sub_i32 s5, s2, s6
	s_cmp_ge_u32 s2, s6
	v_ashrrev_i32_e32 v10, 3, v3
	s_cselect_b32 s1, s3, s1
	s_cselect_b32 s2, s5, s2
	s_add_i32 s3, s1, 1
	s_cmp_ge_u32 s2, s6
	s_cselect_b32 s16, s3, s1
	s_mul_i32 s1, s16, s0
	s_ashr_i32 s2, s1, 31
	v_add_nc_u32_e32 v5, s1, v1
	s_lshr_b32 s2, s2, 29
	s_add_i32 s2, s1, s2
	s_lshr_b32 s1, s18, 3
	s_ashr_i32 s2, s2, 3
	v_ashrrev_i32_e32 v6, 31, v5
	v_add_nc_u32_e32 v3, s2, v10
	s_mul_i32 s2, s0, s1
	s_ashr_i32 s3, s2, 31
	v_lshlrev_b64 v[5:6], 1, v[5:6]
	v_ashrrev_i32_e32 v4, 31, v3
	s_lshl_b64 s[2:3], s[2:3], 2
	s_add_u32 s2, s8, s2
	s_addc_u32 s3, s9, s3
	v_lshlrev_b64 v[3:4], 2, v[3:4]
	s_ashr_i32 s1, s0, 31
	s_add_i32 s8, s6, s18
	s_lshl_b64 s[4:5], s[0:1], 2
	s_mov_b32 s9, 0xf000f0
	v_add_co_u32 v3, vcc_lo, s10, v3
	v_add_co_ci_u32_e64 v4, null, s11, v4, vcc_lo
	v_add_co_u32 v5, vcc_lo, s12, v5
	v_add_co_ci_u32_e64 v6, null, s13, v6, vcc_lo
	global_load_dword v7, v[3:4], off
	global_load_dwordx2 v[4:5], v[5:6], off
	v_lshlrev_b32_e32 v6, 4, v0
	v_lshlrev_b64 v[2:3], 2, v[1:2]
	v_mov_b32_e32 v0, 0x10001
	v_and_b32_e32 v17, 16, v6
	v_add_co_u32 v2, vcc_lo, s2, v2
	v_add_co_ci_u32_e64 v3, null, s3, v3, vcc_lo
	s_lshl_b64 s[2:3], s[0:1], 4
	s_mov_b32 s1, 0xf000f
	s_waitcnt vmcnt(1)
	v_lshrrev_b32_e32 v6, v6, v7
	s_waitcnt vmcnt(0)
	v_cvt_f32_f16_e32 v19, v4
	v_cvt_f32_f16_sdwa v20, v4 dst_sel:DWORD dst_unused:UNUSED_PAD src0_sel:WORD_1
	v_bfe_u32 v4, v7, v17, 4
	v_cvt_f32_f16_e32 v21, v5
	v_bfe_u32 v7, v6, 12, 4
	v_bfe_u32 v12, v6, 8, 4
	;; [unrolled: 1-line block ×3, first 2 shown]
	v_add_nc_u32_e32 v4, v4, v18
	v_cvt_f32_f16_sdwa v22, v5 dst_sel:DWORD dst_unused:UNUSED_PAD src0_sel:WORD_1
	v_add_nc_u32_e32 v5, v7, v18
	v_add_nc_u32_e32 v7, v12, v18
	;; [unrolled: 1-line block ×3, first 2 shown]
	v_cvt_f32_ubyte0_e32 v12, v4
	v_mad_u32_u24 v23, 0x10001, v4, s20
	v_cvt_f32_ubyte0_e32 v4, v5
	v_cvt_f32_ubyte0_e32 v25, v7
	;; [unrolled: 1-line block ×3, first 2 shown]
	v_mad_u32_u24 v24, 0x10001, v5, s20
	v_cvt_f16_f32_e32 v5, v12
	v_cvt_f16_f32_e32 v4, v4
	;; [unrolled: 1-line block ×4, first 2 shown]
	v_mad_u32_u24 v25, 0x10001, v7, s20
	v_sub_f16_e32 v5, 0xd400, v5
	v_sub_f16_e32 v4, 0xd400, v4
	;; [unrolled: 1-line block ×4, first 2 shown]
	v_mad_u32_u24 v26, 0x10001, v6, s20
	v_mul_u32_u24_sdwa v27, v5, v0 dst_sel:DWORD dst_unused:UNUSED_PAD src0_sel:WORD_0 src1_sel:DWORD
	v_mul_u32_u24_sdwa v28, v4, v0 dst_sel:DWORD dst_unused:UNUSED_PAD src0_sel:WORD_0 src1_sel:DWORD
	;; [unrolled: 1-line block ×4, first 2 shown]
	v_mov_b32_e32 v12, 0
	s_branch .LBB21_10
.LBB21_9:                               ;   in Loop: Header=BB21_10 Depth=1
	global_load_dwordx4 v[4:7], v[2:3], off
	s_add_i32 s18, s18, 32
	s_waitcnt vmcnt(0)
	v_and_or_b32 v31, v4, s1, 0x64006400
	v_and_or_b32 v32, v4, s9, 0x64006400
	v_lshrrev_b32_e32 v4, 8, v4
	v_pk_add_f16 v34, v23, v31
	v_and_or_b32 v31, v5, s9, 0x64006400
	v_and_or_b32 v33, v4, s1, 0x64006400
	;; [unrolled: 1-line block ×3, first 2 shown]
	v_pk_fma_f16 v35, 0x2c00, v32, v27 op_sel_hi:[0,1,1]
	v_pk_fma_f16 v38, 0x2c00, v31, v30 op_sel_hi:[0,1,1]
	v_pk_add_f16 v33, v23, v33
	v_pk_fma_f16 v36, 0x2c00, v4, v27 op_sel_hi:[0,1,1]
	v_and_or_b32 v4, v5, s1, 0x64006400
	v_lshrrev_b32_e32 v5, 8, v5
	v_pk_add_f16 v37, v26, v4
	v_and_or_b32 v32, v5, s1, 0x64006400
	v_and_or_b32 v5, v5, s9, 0x64006400
	;; [unrolled: 1-line block ×3, first 2 shown]
	v_pk_add_f16 v39, v26, v32
	v_pk_fma_f16 v40, 0x2c00, v5, v30 op_sel_hi:[0,1,1]
	v_and_or_b32 v5, v6, s9, 0x64006400
	v_lshrrev_b32_e32 v6, 8, v6
	v_pk_add_f16 v41, v25, v4
	v_and_or_b32 v4, v7, s1, 0x64006400
	v_pk_fma_f16 v42, 0x2c00, v5, v29 op_sel_hi:[0,1,1]
	v_and_or_b32 v31, v6, s1, 0x64006400
	v_and_or_b32 v6, v6, s9, 0x64006400
	;; [unrolled: 1-line block ×3, first 2 shown]
	v_pk_add_f16 v45, v24, v4
	v_mov_b32_e32 v4, s17
	v_pk_add_f16 v43, v25, v31
	v_pk_fma_f16 v44, 0x2c00, v6, v29 op_sel_hi:[0,1,1]
	v_lshrrev_b32_e32 v6, 8, v7
	v_pk_fma_f16 v46, 0x2c00, v5, v28 op_sel_hi:[0,1,1]
	s_add_i32 s17, s17, 64
	s_cmp_ge_i32 s18, s19
	v_and_or_b32 v7, v6, s1, 0x64006400
	v_and_or_b32 v6, v6, s9, 0x64006400
	v_pk_add_f16 v7, v24, v7
	v_pk_fma_f16 v47, 0x2c00, v6, v28 op_sel_hi:[0,1,1]
	ds_read2_b32 v[5:6], v4 offset1:1
	s_waitcnt lgkmcnt(0)
	v_pk_fma_f16 v31, v34, v5, 0
	v_pk_fma_f16 v48, v35, v6, v31
	ds_read2_b32 v[31:32], v4 offset0:2 offset1:3
	s_waitcnt lgkmcnt(0)
	v_pk_fma_f16 v48, v33, v31, v48
	v_pk_fma_f16 v48, v36, v32, v48
	v_cvt_f32_f16_e32 v49, v48
	v_cvt_f32_f16_sdwa v48, v48 dst_sel:DWORD dst_unused:UNUSED_PAD src0_sel:WORD_1
	v_add_f32_e32 v48, v49, v48
	v_fmac_f32_e32 v15, v48, v19
	v_pk_fma_f16 v48, v37, v5, 0
	v_pk_fma_f16 v48, v38, v6, v48
	;; [unrolled: 1-line block ×4, first 2 shown]
	v_cvt_f32_f16_e32 v49, v48
	v_cvt_f32_f16_sdwa v48, v48 dst_sel:DWORD dst_unused:UNUSED_PAD src0_sel:WORD_1
	v_add_f32_e32 v48, v49, v48
	v_fmac_f32_e32 v16, v48, v20
	v_pk_fma_f16 v48, v41, v5, 0
	v_pk_fma_f16 v5, v45, v5, 0
	;; [unrolled: 1-line block ×8, first 2 shown]
	v_cvt_f32_f16_e32 v49, v48
	v_cvt_f32_f16_e32 v6, v5
	v_cvt_f32_f16_sdwa v5, v5 dst_sel:DWORD dst_unused:UNUSED_PAD src0_sel:WORD_1
	v_cvt_f32_f16_sdwa v48, v48 dst_sel:DWORD dst_unused:UNUSED_PAD src0_sel:WORD_1
	v_add_f32_e32 v5, v6, v5
	v_add_f32_e32 v48, v49, v48
	v_fmac_f32_e32 v13, v5, v22
	ds_read2_b32 v[5:6], v4 offset0:64 offset1:65
	v_fmac_f32_e32 v14, v48, v21
	s_waitcnt lgkmcnt(0)
	v_pk_fma_f16 v31, v34, v5, 0
	v_pk_fma_f16 v34, v35, v6, v31
	ds_read2_b32 v[31:32], v4 offset0:66 offset1:67
	s_waitcnt lgkmcnt(0)
	v_pk_fma_f16 v33, v33, v31, v34
	v_pk_fma_f16 v33, v36, v32, v33
	v_cvt_f32_f16_e32 v34, v33
	v_cvt_f32_f16_sdwa v33, v33 dst_sel:DWORD dst_unused:UNUSED_PAD src0_sel:WORD_1
	v_add_f32_e32 v33, v34, v33
	v_fmac_f32_e32 v11, v33, v19
	v_pk_fma_f16 v33, v37, v5, 0
	v_pk_fma_f16 v33, v38, v6, v33
	;; [unrolled: 1-line block ×4, first 2 shown]
	v_cvt_f32_f16_e32 v34, v33
	v_cvt_f32_f16_sdwa v33, v33 dst_sel:DWORD dst_unused:UNUSED_PAD src0_sel:WORD_1
	v_add_f32_e32 v33, v34, v33
	v_fmac_f32_e32 v9, v33, v20
	v_pk_fma_f16 v33, v41, v5, 0
	v_pk_fma_f16 v5, v45, v5, 0
	;; [unrolled: 1-line block ×8, first 2 shown]
	v_cvt_f32_f16_e32 v34, v33
	v_cvt_f32_f16_e32 v6, v5
	v_cvt_f32_f16_sdwa v5, v5 dst_sel:DWORD dst_unused:UNUSED_PAD src0_sel:WORD_1
	v_cvt_f32_f16_sdwa v33, v33 dst_sel:DWORD dst_unused:UNUSED_PAD src0_sel:WORD_1
	v_add_f32_e32 v5, v6, v5
	v_add_f32_e32 v33, v34, v33
	v_fmac_f32_e32 v12, v5, v22
	v_add_co_u32 v5, vcc_lo, v2, s4
	v_add_co_ci_u32_e64 v6, null, s5, v3, vcc_lo
	v_fmac_f32_e32 v8, v33, v21
	global_load_dwordx4 v[31:34], v[5:6], off
	v_add_co_u32 v5, vcc_lo, v5, s4
	v_add_co_ci_u32_e64 v6, null, s5, v6, vcc_lo
	s_waitcnt vmcnt(0)
	v_and_or_b32 v7, v31, s1, 0x64006400
	v_and_or_b32 v35, v31, s9, 0x64006400
	v_lshrrev_b32_e32 v31, 8, v31
	v_and_or_b32 v38, v32, s9, 0x64006400
	v_pk_add_f16 v7, v23, v7
	v_pk_fma_f16 v35, 0x2c00, v35, v27 op_sel_hi:[0,1,1]
	v_and_or_b32 v36, v31, s1, 0x64006400
	v_and_or_b32 v31, v31, s9, 0x64006400
	v_pk_fma_f16 v38, 0x2c00, v38, v30 op_sel_hi:[0,1,1]
	v_pk_add_f16 v36, v23, v36
	v_pk_fma_f16 v37, 0x2c00, v31, v27 op_sel_hi:[0,1,1]
	v_and_or_b32 v31, v32, s1, 0x64006400
	v_lshrrev_b32_e32 v32, 8, v32
	v_pk_add_f16 v40, v26, v31
	v_and_or_b32 v39, v32, s1, 0x64006400
	v_and_or_b32 v32, v32, s9, 0x64006400
	;; [unrolled: 1-line block ×3, first 2 shown]
	v_pk_add_f16 v39, v26, v39
	v_pk_fma_f16 v41, 0x2c00, v32, v30 op_sel_hi:[0,1,1]
	v_and_or_b32 v32, v33, s9, 0x64006400
	v_pk_add_f16 v43, v25, v31
	v_and_or_b32 v31, v34, s1, 0x64006400
	v_lshrrev_b32_e32 v33, 8, v33
	v_pk_fma_f16 v44, 0x2c00, v32, v29 op_sel_hi:[0,1,1]
	v_and_or_b32 v32, v34, s9, 0x64006400
	v_pk_add_f16 v46, v24, v31
	v_and_or_b32 v42, v33, s1, 0x64006400
	v_and_or_b32 v33, v33, s9, 0x64006400
	v_pk_fma_f16 v47, 0x2c00, v32, v28 op_sel_hi:[0,1,1]
	ds_read2_b32 v[31:32], v4 offset0:4 offset1:5
	v_pk_add_f16 v42, v25, v42
	v_pk_fma_f16 v45, 0x2c00, v33, v29 op_sel_hi:[0,1,1]
	v_lshrrev_b32_e32 v33, 8, v34
	v_and_or_b32 v34, v33, s1, 0x64006400
	v_and_or_b32 v33, v33, s9, 0x64006400
	v_pk_add_f16 v48, v24, v34
	v_pk_fma_f16 v49, 0x2c00, v33, v28 op_sel_hi:[0,1,1]
	s_waitcnt lgkmcnt(0)
	v_pk_fma_f16 v33, v7, v31, 0
	v_pk_fma_f16 v50, v35, v32, v33
	ds_read2_b32 v[33:34], v4 offset0:6 offset1:7
	s_waitcnt lgkmcnt(0)
	v_pk_fma_f16 v50, v36, v33, v50
	v_pk_fma_f16 v50, v37, v34, v50
	v_cvt_f32_f16_e32 v51, v50
	v_cvt_f32_f16_sdwa v50, v50 dst_sel:DWORD dst_unused:UNUSED_PAD src0_sel:WORD_1
	v_add_f32_e32 v50, v51, v50
	v_fmac_f32_e32 v15, v50, v19
	v_pk_fma_f16 v50, v40, v31, 0
	v_pk_fma_f16 v50, v38, v32, v50
	;; [unrolled: 1-line block ×4, first 2 shown]
	v_cvt_f32_f16_e32 v51, v50
	v_cvt_f32_f16_sdwa v50, v50 dst_sel:DWORD dst_unused:UNUSED_PAD src0_sel:WORD_1
	v_add_f32_e32 v50, v51, v50
	v_fmac_f32_e32 v16, v50, v20
	v_pk_fma_f16 v50, v43, v31, 0
	v_pk_fma_f16 v31, v46, v31, 0
	;; [unrolled: 1-line block ×8, first 2 shown]
	ds_read2_b32 v[33:34], v4 offset0:70 offset1:71
	v_cvt_f32_f16_e32 v51, v50
	v_cvt_f32_f16_e32 v32, v31
	v_cvt_f32_f16_sdwa v31, v31 dst_sel:DWORD dst_unused:UNUSED_PAD src0_sel:WORD_1
	v_cvt_f32_f16_sdwa v50, v50 dst_sel:DWORD dst_unused:UNUSED_PAD src0_sel:WORD_1
	v_add_f32_e32 v31, v32, v31
	v_add_f32_e32 v50, v51, v50
	v_fmac_f32_e32 v13, v31, v22
	ds_read2_b32 v[31:32], v4 offset0:68 offset1:69
	v_fmac_f32_e32 v14, v50, v21
	s_waitcnt lgkmcnt(0)
	v_pk_fma_f16 v7, v7, v31, 0
	v_pk_fma_f16 v7, v35, v32, v7
	v_pk_fma_f16 v7, v36, v33, v7
	v_pk_fma_f16 v7, v37, v34, v7
	v_cvt_f32_f16_e32 v35, v7
	v_cvt_f32_f16_sdwa v7, v7 dst_sel:DWORD dst_unused:UNUSED_PAD src0_sel:WORD_1
	v_add_f32_e32 v7, v35, v7
	v_fmac_f32_e32 v11, v7, v19
	v_pk_fma_f16 v7, v40, v31, 0
	v_pk_fma_f16 v7, v38, v32, v7
	v_pk_fma_f16 v7, v39, v33, v7
	v_pk_fma_f16 v7, v41, v34, v7
	v_cvt_f32_f16_e32 v35, v7
	v_cvt_f32_f16_sdwa v7, v7 dst_sel:DWORD dst_unused:UNUSED_PAD src0_sel:WORD_1
	v_add_f32_e32 v7, v35, v7
	v_fmac_f32_e32 v9, v7, v20
	v_pk_fma_f16 v7, v43, v31, 0
	v_pk_fma_f16 v7, v44, v32, v7
	v_pk_fma_f16 v7, v42, v33, v7
	v_pk_fma_f16 v7, v45, v34, v7
	v_cvt_f32_f16_e32 v35, v7
	v_cvt_f32_f16_sdwa v7, v7 dst_sel:DWORD dst_unused:UNUSED_PAD src0_sel:WORD_1
	v_add_f32_e32 v7, v35, v7
	v_fmac_f32_e32 v8, v7, v21
	v_pk_fma_f16 v7, v46, v31, 0
	v_pk_fma_f16 v7, v47, v32, v7
	;; [unrolled: 1-line block ×4, first 2 shown]
	v_cvt_f32_f16_e32 v31, v7
	v_cvt_f32_f16_sdwa v7, v7 dst_sel:DWORD dst_unused:UNUSED_PAD src0_sel:WORD_1
	v_add_f32_e32 v7, v31, v7
	global_load_dwordx4 v[31:34], v[5:6], off
	v_add_co_u32 v5, vcc_lo, v5, s4
	v_add_co_ci_u32_e64 v6, null, s5, v6, vcc_lo
	v_fmac_f32_e32 v12, v7, v22
	v_add_co_u32 v2, vcc_lo, v2, s2
	v_add_co_ci_u32_e64 v3, null, s3, v3, vcc_lo
	s_waitcnt vmcnt(0)
	v_and_or_b32 v7, v31, s1, 0x64006400
	v_and_or_b32 v35, v31, s9, 0x64006400
	v_lshrrev_b32_e32 v31, 8, v31
	v_and_or_b32 v38, v32, s9, 0x64006400
	v_pk_add_f16 v7, v23, v7
	v_pk_fma_f16 v35, 0x2c00, v35, v27 op_sel_hi:[0,1,1]
	v_and_or_b32 v36, v31, s1, 0x64006400
	v_and_or_b32 v31, v31, s9, 0x64006400
	v_pk_fma_f16 v38, 0x2c00, v38, v30 op_sel_hi:[0,1,1]
	v_pk_add_f16 v36, v23, v36
	v_pk_fma_f16 v37, 0x2c00, v31, v27 op_sel_hi:[0,1,1]
	v_and_or_b32 v31, v32, s1, 0x64006400
	v_lshrrev_b32_e32 v32, 8, v32
	v_pk_add_f16 v40, v26, v31
	v_and_or_b32 v39, v32, s1, 0x64006400
	v_and_or_b32 v32, v32, s9, 0x64006400
	;; [unrolled: 1-line block ×3, first 2 shown]
	v_pk_add_f16 v39, v26, v39
	v_pk_fma_f16 v41, 0x2c00, v32, v30 op_sel_hi:[0,1,1]
	v_and_or_b32 v32, v33, s9, 0x64006400
	v_pk_add_f16 v43, v25, v31
	v_and_or_b32 v31, v34, s1, 0x64006400
	v_lshrrev_b32_e32 v33, 8, v33
	v_pk_fma_f16 v44, 0x2c00, v32, v29 op_sel_hi:[0,1,1]
	v_and_or_b32 v32, v34, s9, 0x64006400
	v_pk_add_f16 v46, v24, v31
	v_and_or_b32 v42, v33, s1, 0x64006400
	v_and_or_b32 v33, v33, s9, 0x64006400
	v_pk_fma_f16 v47, 0x2c00, v32, v28 op_sel_hi:[0,1,1]
	ds_read2_b32 v[31:32], v4 offset0:8 offset1:9
	v_pk_add_f16 v42, v25, v42
	v_pk_fma_f16 v45, 0x2c00, v33, v29 op_sel_hi:[0,1,1]
	v_lshrrev_b32_e32 v33, 8, v34
	v_and_or_b32 v34, v33, s1, 0x64006400
	v_and_or_b32 v33, v33, s9, 0x64006400
	v_pk_add_f16 v48, v24, v34
	v_pk_fma_f16 v49, 0x2c00, v33, v28 op_sel_hi:[0,1,1]
	s_waitcnt lgkmcnt(0)
	v_pk_fma_f16 v33, v7, v31, 0
	v_pk_fma_f16 v50, v35, v32, v33
	ds_read2_b32 v[33:34], v4 offset0:10 offset1:11
	s_waitcnt lgkmcnt(0)
	v_pk_fma_f16 v50, v36, v33, v50
	v_pk_fma_f16 v50, v37, v34, v50
	v_cvt_f32_f16_e32 v51, v50
	v_cvt_f32_f16_sdwa v50, v50 dst_sel:DWORD dst_unused:UNUSED_PAD src0_sel:WORD_1
	v_add_f32_e32 v50, v51, v50
	v_fmac_f32_e32 v15, v50, v19
	v_pk_fma_f16 v50, v40, v31, 0
	v_pk_fma_f16 v50, v38, v32, v50
	;; [unrolled: 1-line block ×4, first 2 shown]
	v_cvt_f32_f16_e32 v51, v50
	v_cvt_f32_f16_sdwa v50, v50 dst_sel:DWORD dst_unused:UNUSED_PAD src0_sel:WORD_1
	v_add_f32_e32 v50, v51, v50
	v_fmac_f32_e32 v16, v50, v20
	v_pk_fma_f16 v50, v43, v31, 0
	v_pk_fma_f16 v31, v46, v31, 0
	;; [unrolled: 1-line block ×8, first 2 shown]
	ds_read2_b32 v[33:34], v4 offset0:74 offset1:75
	v_cvt_f32_f16_e32 v51, v50
	v_cvt_f32_f16_e32 v32, v31
	v_cvt_f32_f16_sdwa v31, v31 dst_sel:DWORD dst_unused:UNUSED_PAD src0_sel:WORD_1
	v_cvt_f32_f16_sdwa v50, v50 dst_sel:DWORD dst_unused:UNUSED_PAD src0_sel:WORD_1
	v_add_f32_e32 v31, v32, v31
	v_add_f32_e32 v50, v51, v50
	v_fmac_f32_e32 v13, v31, v22
	ds_read2_b32 v[31:32], v4 offset0:72 offset1:73
	v_fmac_f32_e32 v14, v50, v21
	s_waitcnt lgkmcnt(0)
	v_pk_fma_f16 v7, v7, v31, 0
	v_pk_fma_f16 v7, v35, v32, v7
	;; [unrolled: 1-line block ×4, first 2 shown]
	v_cvt_f32_f16_e32 v35, v7
	v_cvt_f32_f16_sdwa v7, v7 dst_sel:DWORD dst_unused:UNUSED_PAD src0_sel:WORD_1
	v_add_f32_e32 v7, v35, v7
	v_fmac_f32_e32 v11, v7, v19
	v_pk_fma_f16 v7, v40, v31, 0
	v_pk_fma_f16 v7, v38, v32, v7
	;; [unrolled: 1-line block ×4, first 2 shown]
	v_cvt_f32_f16_e32 v35, v7
	v_cvt_f32_f16_sdwa v7, v7 dst_sel:DWORD dst_unused:UNUSED_PAD src0_sel:WORD_1
	v_add_f32_e32 v7, v35, v7
	v_fmac_f32_e32 v9, v7, v20
	v_pk_fma_f16 v7, v43, v31, 0
	v_pk_fma_f16 v7, v44, v32, v7
	ds_read2_b32 v[43:44], v4 offset0:14 offset1:15
	v_pk_fma_f16 v7, v42, v33, v7
	v_pk_fma_f16 v7, v45, v34, v7
	v_cvt_f32_f16_e32 v35, v7
	v_cvt_f32_f16_sdwa v7, v7 dst_sel:DWORD dst_unused:UNUSED_PAD src0_sel:WORD_1
	v_add_f32_e32 v7, v35, v7
	v_fmac_f32_e32 v8, v7, v21
	v_pk_fma_f16 v7, v46, v31, 0
	v_pk_fma_f16 v7, v47, v32, v7
	;; [unrolled: 1-line block ×4, first 2 shown]
	v_cvt_f32_f16_e32 v31, v7
	v_cvt_f32_f16_sdwa v7, v7 dst_sel:DWORD dst_unused:UNUSED_PAD src0_sel:WORD_1
	v_add_f32_e32 v7, v31, v7
	global_load_dwordx4 v[31:34], v[5:6], off
	v_fmac_f32_e32 v12, v7, v22
	s_waitcnt vmcnt(0)
	v_lshrrev_b32_e32 v7, 8, v31
	v_and_or_b32 v5, v31, s1, 0x64006400
	v_and_or_b32 v6, v31, s9, 0x64006400
	;; [unrolled: 1-line block ×4, first 2 shown]
	v_pk_add_f16 v45, v23, v5
	v_pk_fma_f16 v46, 0x2c00, v6, v27 op_sel_hi:[0,1,1]
	v_and_or_b32 v5, v32, s1, 0x64006400
	v_pk_add_f16 v47, v23, v31
	v_pk_fma_f16 v48, 0x2c00, v7, v27 op_sel_hi:[0,1,1]
	v_lshrrev_b32_e32 v7, 8, v32
	v_and_or_b32 v6, v32, s9, 0x64006400
	v_pk_add_f16 v39, v26, v5
	v_and_or_b32 v5, v33, s1, 0x64006400
	v_and_or_b32 v31, v7, s1, 0x64006400
	;; [unrolled: 1-line block ×3, first 2 shown]
	v_pk_fma_f16 v40, 0x2c00, v6, v30 op_sel_hi:[0,1,1]
	v_and_or_b32 v6, v33, s9, 0x64006400
	v_pk_add_f16 v35, v25, v5
	v_pk_add_f16 v41, v26, v31
	v_pk_fma_f16 v42, 0x2c00, v7, v30 op_sel_hi:[0,1,1]
	v_lshrrev_b32_e32 v7, 8, v33
	v_pk_fma_f16 v36, 0x2c00, v6, v29 op_sel_hi:[0,1,1]
	v_and_or_b32 v5, v34, s1, 0x64006400
	v_and_or_b32 v6, v34, s9, 0x64006400
	v_and_or_b32 v31, v7, s1, 0x64006400
	v_and_or_b32 v7, v7, s9, 0x64006400
	v_pk_fma_f16 v33, 0x2c00, v6, v28 op_sel_hi:[0,1,1]
	v_pk_add_f16 v37, v25, v31
	v_pk_fma_f16 v38, 0x2c00, v7, v29 op_sel_hi:[0,1,1]
	v_lshrrev_b32_e32 v7, 8, v34
	v_pk_add_f16 v34, v24, v5
	ds_read2_b32 v[5:6], v4 offset0:12 offset1:13
	v_and_or_b32 v31, v7, s1, 0x64006400
	v_and_or_b32 v7, v7, s9, 0x64006400
	v_pk_add_f16 v32, v24, v31
	v_pk_fma_f16 v31, 0x2c00, v7, v28 op_sel_hi:[0,1,1]
	s_waitcnt lgkmcnt(0)
	v_pk_fma_f16 v7, v45, v5, 0
	v_pk_fma_f16 v7, v46, v6, v7
	;; [unrolled: 1-line block ×4, first 2 shown]
	v_cvt_f32_f16_e32 v49, v7
	v_cvt_f32_f16_sdwa v7, v7 dst_sel:DWORD dst_unused:UNUSED_PAD src0_sel:WORD_1
	v_add_f32_e32 v7, v49, v7
	v_fmac_f32_e32 v15, v7, v19
	v_pk_fma_f16 v7, v39, v5, 0
	v_pk_fma_f16 v7, v40, v6, v7
	;; [unrolled: 1-line block ×4, first 2 shown]
	v_cvt_f32_f16_e32 v49, v7
	v_cvt_f32_f16_sdwa v7, v7 dst_sel:DWORD dst_unused:UNUSED_PAD src0_sel:WORD_1
	v_add_f32_e32 v7, v49, v7
	v_fmac_f32_e32 v16, v7, v20
	v_pk_fma_f16 v7, v35, v5, 0
	v_pk_fma_f16 v5, v34, v5, 0
	;; [unrolled: 1-line block ×8, first 2 shown]
	v_cvt_f32_f16_e32 v49, v7
	v_cvt_f32_f16_sdwa v7, v7 dst_sel:DWORD dst_unused:UNUSED_PAD src0_sel:WORD_1
	v_cvt_f32_f16_e32 v6, v5
	v_cvt_f32_f16_sdwa v5, v5 dst_sel:DWORD dst_unused:UNUSED_PAD src0_sel:WORD_1
	v_add_f32_e32 v7, v49, v7
	v_add_f32_e32 v5, v6, v5
	v_fmac_f32_e32 v14, v7, v21
	ds_read2_b32 v[6:7], v4 offset0:76 offset1:77
	v_fmac_f32_e32 v13, v5, v22
	s_waitcnt lgkmcnt(0)
	v_pk_fma_f16 v5, v45, v6, 0
	v_pk_fma_f16 v39, v39, v6, 0
	;; [unrolled: 1-line block ×5, first 2 shown]
	ds_read2_b32 v[4:5], v4 offset0:78 offset1:79
	v_pk_fma_f16 v39, v40, v7, v39
	v_pk_fma_f16 v35, v36, v7, v35
	v_pk_fma_f16 v6, v33, v7, v6
	s_waitcnt lgkmcnt(0)
	v_pk_fma_f16 v43, v47, v4, v43
	v_pk_fma_f16 v39, v41, v4, v39
	;; [unrolled: 1-line block ×8, first 2 shown]
	v_cvt_f32_f16_e32 v44, v43
	v_cvt_f32_f16_sdwa v43, v43 dst_sel:DWORD dst_unused:UNUSED_PAD src0_sel:WORD_1
	v_cvt_f32_f16_e32 v40, v39
	v_cvt_f32_f16_sdwa v39, v39 dst_sel:DWORD dst_unused:UNUSED_PAD src0_sel:WORD_1
	;; [unrolled: 2-line block ×4, first 2 shown]
	v_add_f32_e32 v43, v44, v43
	v_add_f32_e32 v39, v40, v39
	;; [unrolled: 1-line block ×4, first 2 shown]
	v_fmac_f32_e32 v11, v43, v19
	v_fmac_f32_e32 v9, v39, v20
	;; [unrolled: 1-line block ×4, first 2 shown]
	s_cbranch_scc1 .LBB21_12
.LBB21_10:                              ; =>This Inner Loop Header: Depth=1
	s_cmp_lg_u32 s18, s8
	s_cbranch_scc1 .LBB21_9
; %bb.11:                               ;   in Loop: Header=BB21_10 Depth=1
	s_add_i32 s16, s16, 1
	s_add_i32 s8, s8, s6
	s_mul_i32 s21, s16, s0
	s_ashr_i32 s22, s21, 31
	v_add_nc_u32_e32 v6, s21, v1
	s_lshr_b32 s22, s22, 29
	s_add_i32 s22, s21, s22
	v_ashrrev_i32_e32 v7, 31, v6
	s_ashr_i32 s22, s22, 3
	v_add_nc_u32_e32 v4, s22, v10
	v_lshlrev_b64 v[6:7], 1, v[6:7]
	v_ashrrev_i32_e32 v5, 31, v4
	v_lshlrev_b64 v[4:5], 2, v[4:5]
	v_add_co_u32 v4, vcc_lo, s10, v4
	v_add_co_ci_u32_e64 v5, null, s11, v5, vcc_lo
	v_add_co_u32 v6, vcc_lo, s12, v6
	v_add_co_ci_u32_e64 v7, null, s13, v7, vcc_lo
	global_load_dword v21, v[4:5], off
	global_load_dwordx2 v[4:5], v[6:7], off
	s_waitcnt vmcnt(1)
	v_lshrrev_b32_e32 v6, v17, v21
	s_waitcnt vmcnt(0)
	v_cvt_f32_f16_e32 v19, v4
	v_cvt_f32_f16_sdwa v20, v4 dst_sel:DWORD dst_unused:UNUSED_PAD src0_sel:WORD_1
	v_bfe_u32 v4, v21, v17, 4
	v_cvt_f32_f16_e32 v21, v5
	v_bfe_u32 v7, v6, 4, 4
	v_bfe_u32 v23, v6, 8, 4
	;; [unrolled: 1-line block ×3, first 2 shown]
	v_add_nc_u32_e32 v4, v4, v18
	v_cvt_f32_f16_sdwa v22, v5 dst_sel:DWORD dst_unused:UNUSED_PAD src0_sel:WORD_1
	v_add_nc_u32_e32 v5, v7, v18
	v_add_nc_u32_e32 v7, v23, v18
	;; [unrolled: 1-line block ×3, first 2 shown]
	v_cvt_f32_ubyte0_e32 v24, v4
	v_mad_u32_u24 v23, 0x10001, v4, s20
	v_cvt_f32_ubyte0_e32 v4, v5
	v_cvt_f32_ubyte0_e32 v25, v7
	;; [unrolled: 1-line block ×3, first 2 shown]
	v_cvt_f16_f32_e32 v24, v24
	v_mad_u32_u24 v26, 0x10001, v5, s20
	v_cvt_f16_f32_e32 v4, v4
	v_cvt_f16_f32_e32 v5, v25
	;; [unrolled: 1-line block ×3, first 2 shown]
	v_mad_u32_u24 v25, 0x10001, v7, s20
	v_sub_f16_e32 v7, 0xd400, v24
	v_sub_f16_e32 v4, 0xd400, v4
	;; [unrolled: 1-line block ×4, first 2 shown]
	v_mad_u32_u24 v24, 0x10001, v6, s20
	v_mul_u32_u24_sdwa v27, v7, v0 dst_sel:DWORD dst_unused:UNUSED_PAD src0_sel:WORD_0 src1_sel:DWORD
	v_mul_u32_u24_sdwa v30, v4, v0 dst_sel:DWORD dst_unused:UNUSED_PAD src0_sel:WORD_0 src1_sel:DWORD
	;; [unrolled: 1-line block ×4, first 2 shown]
	s_branch .LBB21_9
.LBB21_12:
	v_mad_u64_u32 v[0:1], null, s7, s0, v[1:2]
	v_cvt_f16_f32_e32 v3, v15
	v_cvt_f16_f32_e32 v5, v16
	s_mov_b32 s1, 0
	v_pack_b32_f16 v5, v3, v5
	v_ashrrev_i32_e32 v1, 31, v0
	v_lshlrev_b64 v[1:2], 1, v[0:1]
	v_add_co_u32 v1, vcc_lo, s14, v1
	v_add_co_ci_u32_e64 v2, null, s15, v2, vcc_lo
	global_load_dword v4, v[1:2], off
.LBB21_13:                              ; =>This Inner Loop Header: Depth=1
	s_waitcnt vmcnt(0)
	v_pk_add_f16 v3, v5, v4
	global_atomic_cmpswap v3, v[1:2], v[3:4], off glc
	s_waitcnt vmcnt(0)
	v_cmp_eq_u32_e32 vcc_lo, v4, v3
	v_mov_b32_e32 v4, v3
	s_or_b32 s1, vcc_lo, s1
	s_andn2_b32 exec_lo, exec_lo, s1
	s_cbranch_execnz .LBB21_13
; %bb.14:
	s_or_b32 exec_lo, exec_lo, s1
	global_load_dword v4, v[1:2], off offset:4
	v_cvt_f16_f32_e32 v3, v14
	v_cvt_f16_f32_e32 v5, v13
	s_mov_b32 s1, 0
	v_pack_b32_f16 v5, v3, v5
.LBB21_15:                              ; =>This Inner Loop Header: Depth=1
	s_waitcnt vmcnt(0)
	v_pk_add_f16 v3, v5, v4
	global_atomic_cmpswap v3, v[1:2], v[3:4], off offset:4 glc
	s_waitcnt vmcnt(0)
	v_cmp_eq_u32_e32 vcc_lo, v4, v3
	v_mov_b32_e32 v4, v3
	s_or_b32 s1, vcc_lo, s1
	s_andn2_b32 exec_lo, exec_lo, s1
	s_cbranch_execnz .LBB21_15
; %bb.16:
	s_or_b32 exec_lo, exec_lo, s1
	v_add_nc_u32_e32 v0, s0, v0
	v_cvt_f16_f32_e32 v2, v11
	v_cvt_f16_f32_e32 v4, v9
	s_mov_b32 s0, 0
	v_ashrrev_i32_e32 v1, 31, v0
	v_pack_b32_f16 v4, v2, v4
	v_lshlrev_b64 v[0:1], 1, v[0:1]
	v_add_co_u32 v0, vcc_lo, s14, v0
	v_add_co_ci_u32_e64 v1, null, s15, v1, vcc_lo
	global_load_dword v3, v[0:1], off
.LBB21_17:                              ; =>This Inner Loop Header: Depth=1
	s_waitcnt vmcnt(0)
	v_pk_add_f16 v2, v4, v3
	global_atomic_cmpswap v2, v[0:1], v[2:3], off glc
	s_waitcnt vmcnt(0)
	v_cmp_eq_u32_e32 vcc_lo, v3, v2
	v_mov_b32_e32 v3, v2
	s_or_b32 s0, vcc_lo, s0
	s_andn2_b32 exec_lo, exec_lo, s0
	s_cbranch_execnz .LBB21_17
; %bb.18:
	s_or_b32 exec_lo, exec_lo, s0
	global_load_dword v3, v[0:1], off offset:4
	v_cvt_f16_f32_e32 v2, v8
	v_cvt_f16_f32_e32 v4, v12
	s_mov_b32 s0, 0
	v_pack_b32_f16 v4, v2, v4
.LBB21_19:                              ; =>This Inner Loop Header: Depth=1
	s_waitcnt vmcnt(0)
	v_pk_add_f16 v2, v4, v3
	global_atomic_cmpswap v2, v[0:1], v[2:3], off offset:4 glc
	s_waitcnt vmcnt(0)
	v_cmp_eq_u32_e32 vcc_lo, v3, v2
	v_mov_b32_e32 v3, v2
	s_or_b32 s0, vcc_lo, s0
	s_andn2_b32 exec_lo, exec_lo, s0
	s_cbranch_execnz .LBB21_19
.LBB21_20:
	s_endpgm
	.section	.rodata,"a",@progbits
	.p2align	6, 0x0
	.amdhsa_kernel _ZN4vllm4gptq33gemm_half_q_half_gptq_4bit_kernelILb1ELi2EEEvPK6__halfPKjS6_S4_PS2_iiiibPKi
		.amdhsa_group_segment_fixed_size 512
		.amdhsa_private_segment_fixed_size 0
		.amdhsa_kernarg_size 72
		.amdhsa_user_sgpr_count 6
		.amdhsa_user_sgpr_private_segment_buffer 1
		.amdhsa_user_sgpr_dispatch_ptr 0
		.amdhsa_user_sgpr_queue_ptr 0
		.amdhsa_user_sgpr_kernarg_segment_ptr 1
		.amdhsa_user_sgpr_dispatch_id 0
		.amdhsa_user_sgpr_flat_scratch_init 0
		.amdhsa_user_sgpr_private_segment_size 0
		.amdhsa_wavefront_size32 1
		.amdhsa_uses_dynamic_stack 0
		.amdhsa_system_sgpr_private_segment_wavefront_offset 0
		.amdhsa_system_sgpr_workgroup_id_x 1
		.amdhsa_system_sgpr_workgroup_id_y 1
		.amdhsa_system_sgpr_workgroup_id_z 1
		.amdhsa_system_sgpr_workgroup_info 0
		.amdhsa_system_vgpr_workitem_id 0
		.amdhsa_next_free_vgpr 52
		.amdhsa_next_free_sgpr 24
		.amdhsa_reserve_vcc 1
		.amdhsa_reserve_flat_scratch 0
		.amdhsa_float_round_mode_32 0
		.amdhsa_float_round_mode_16_64 0
		.amdhsa_float_denorm_mode_32 3
		.amdhsa_float_denorm_mode_16_64 3
		.amdhsa_dx10_clamp 1
		.amdhsa_ieee_mode 1
		.amdhsa_fp16_overflow 0
		.amdhsa_workgroup_processor_mode 1
		.amdhsa_memory_ordered 1
		.amdhsa_forward_progress 1
		.amdhsa_shared_vgpr_count 0
		.amdhsa_exception_fp_ieee_invalid_op 0
		.amdhsa_exception_fp_denorm_src 0
		.amdhsa_exception_fp_ieee_div_zero 0
		.amdhsa_exception_fp_ieee_overflow 0
		.amdhsa_exception_fp_ieee_underflow 0
		.amdhsa_exception_fp_ieee_inexact 0
		.amdhsa_exception_int_div_zero 0
	.end_amdhsa_kernel
	.section	.text._ZN4vllm4gptq33gemm_half_q_half_gptq_4bit_kernelILb1ELi2EEEvPK6__halfPKjS6_S4_PS2_iiiibPKi,"axG",@progbits,_ZN4vllm4gptq33gemm_half_q_half_gptq_4bit_kernelILb1ELi2EEEvPK6__halfPKjS6_S4_PS2_iiiibPKi,comdat
.Lfunc_end21:
	.size	_ZN4vllm4gptq33gemm_half_q_half_gptq_4bit_kernelILb1ELi2EEEvPK6__halfPKjS6_S4_PS2_iiiibPKi, .Lfunc_end21-_ZN4vllm4gptq33gemm_half_q_half_gptq_4bit_kernelILb1ELi2EEEvPK6__halfPKjS6_S4_PS2_iiiibPKi
                                        ; -- End function
	.set _ZN4vllm4gptq33gemm_half_q_half_gptq_4bit_kernelILb1ELi2EEEvPK6__halfPKjS6_S4_PS2_iiiibPKi.num_vgpr, 52
	.set _ZN4vllm4gptq33gemm_half_q_half_gptq_4bit_kernelILb1ELi2EEEvPK6__halfPKjS6_S4_PS2_iiiibPKi.num_agpr, 0
	.set _ZN4vllm4gptq33gemm_half_q_half_gptq_4bit_kernelILb1ELi2EEEvPK6__halfPKjS6_S4_PS2_iiiibPKi.numbered_sgpr, 24
	.set _ZN4vllm4gptq33gemm_half_q_half_gptq_4bit_kernelILb1ELi2EEEvPK6__halfPKjS6_S4_PS2_iiiibPKi.num_named_barrier, 0
	.set _ZN4vllm4gptq33gemm_half_q_half_gptq_4bit_kernelILb1ELi2EEEvPK6__halfPKjS6_S4_PS2_iiiibPKi.private_seg_size, 0
	.set _ZN4vllm4gptq33gemm_half_q_half_gptq_4bit_kernelILb1ELi2EEEvPK6__halfPKjS6_S4_PS2_iiiibPKi.uses_vcc, 1
	.set _ZN4vllm4gptq33gemm_half_q_half_gptq_4bit_kernelILb1ELi2EEEvPK6__halfPKjS6_S4_PS2_iiiibPKi.uses_flat_scratch, 0
	.set _ZN4vllm4gptq33gemm_half_q_half_gptq_4bit_kernelILb1ELi2EEEvPK6__halfPKjS6_S4_PS2_iiiibPKi.has_dyn_sized_stack, 0
	.set _ZN4vllm4gptq33gemm_half_q_half_gptq_4bit_kernelILb1ELi2EEEvPK6__halfPKjS6_S4_PS2_iiiibPKi.has_recursion, 0
	.set _ZN4vllm4gptq33gemm_half_q_half_gptq_4bit_kernelILb1ELi2EEEvPK6__halfPKjS6_S4_PS2_iiiibPKi.has_indirect_call, 0
	.section	.AMDGPU.csdata,"",@progbits
; Kernel info:
; codeLenInByte = 5288
; TotalNumSgprs: 26
; NumVgprs: 52
; ScratchSize: 0
; MemoryBound: 0
; FloatMode: 240
; IeeeMode: 1
; LDSByteSize: 512 bytes/workgroup (compile time only)
; SGPRBlocks: 0
; VGPRBlocks: 6
; NumSGPRsForWavesPerEU: 26
; NumVGPRsForWavesPerEU: 52
; Occupancy: 16
; WaveLimiterHint : 0
; COMPUTE_PGM_RSRC2:SCRATCH_EN: 0
; COMPUTE_PGM_RSRC2:USER_SGPR: 6
; COMPUTE_PGM_RSRC2:TRAP_HANDLER: 0
; COMPUTE_PGM_RSRC2:TGID_X_EN: 1
; COMPUTE_PGM_RSRC2:TGID_Y_EN: 1
; COMPUTE_PGM_RSRC2:TGID_Z_EN: 1
; COMPUTE_PGM_RSRC2:TIDIG_COMP_CNT: 0
	.section	.text._ZN4vllm4gptq33gemm_half_q_half_gptq_8bit_kernelILb1ELi2EEEvPK6__halfPKjS6_S4_PS2_iiiibPKi,"axG",@progbits,_ZN4vllm4gptq33gemm_half_q_half_gptq_8bit_kernelILb1ELi2EEEvPK6__halfPKjS6_S4_PS2_iiiibPKi,comdat
	.protected	_ZN4vllm4gptq33gemm_half_q_half_gptq_8bit_kernelILb1ELi2EEEvPK6__halfPKjS6_S4_PS2_iiiibPKi ; -- Begin function _ZN4vllm4gptq33gemm_half_q_half_gptq_8bit_kernelILb1ELi2EEEvPK6__halfPKjS6_S4_PS2_iiiibPKi
	.globl	_ZN4vllm4gptq33gemm_half_q_half_gptq_8bit_kernelILb1ELi2EEEvPK6__halfPKjS6_S4_PS2_iiiibPKi
	.p2align	8
	.type	_ZN4vllm4gptq33gemm_half_q_half_gptq_8bit_kernelILb1ELi2EEEvPK6__halfPKjS6_S4_PS2_iiiibPKi,@function
_ZN4vllm4gptq33gemm_half_q_half_gptq_8bit_kernelILb1ELi2EEEvPK6__halfPKjS6_S4_PS2_iiiibPKi: ; @_ZN4vllm4gptq33gemm_half_q_half_gptq_8bit_kernelILb1ELi2EEEvPK6__halfPKjS6_S4_PS2_iiiibPKi
; %bb.0:
	s_load_dwordx4 s[0:3], s[4:5], 0x2c
	s_lshl_b32 s18, s8, 7
	s_lshl_b32 s7, s7, 1
	s_add_i32 s8, s18, 0x80
	s_mov_b32 s20, exec_lo
	v_cvt_f64_u32_e32 v[1:2], s8
	s_load_dwordx8 s[8:15], s[4:5], 0x8
	s_waitcnt lgkmcnt(0)
	v_cvt_f64_i32_e32 v[3:4], s1
	v_min_f64 v[1:2], v[1:2], v[3:4]
	v_cvt_i32_f64_e32 v2, v[1:2]
	v_add_nc_u32_e32 v1, s18, v0
	v_readfirstlane_b32 s19, v2
	v_cmpx_lt_u32_e64 v1, v2
	s_cbranch_execz .LBB22_6
; %bb.1:
	s_clause 0x1
	s_load_dwordx2 s[16:17], s[4:5], 0x40
	s_load_dwordx2 s[4:5], s[4:5], 0x0
	v_mov_b32_e32 v2, 0
	v_lshlrev_b64 v[3:4], 2, v[1:2]
	v_mov_b32_e32 v6, v2
	v_mov_b32_e32 v5, v1
	s_waitcnt lgkmcnt(0)
	v_add_co_u32 v3, vcc_lo, s16, v3
	v_add_co_ci_u32_e64 v4, null, s17, v4, vcc_lo
	s_cmp_lg_u64 s[16:17], 0
	s_cselect_b32 s21, -1, 0
	s_cmp_eq_u64 s[16:17], 0
	s_cbranch_scc1 .LBB22_3
; %bb.2:
	global_load_dword v5, v[3:4], off
	s_waitcnt vmcnt(0)
	v_ashrrev_i32_e32 v6, 31, v5
.LBB22_3:
	s_mul_i32 s16, s7, s1
	v_lshlrev_b64 v[5:6], 1, v[5:6]
	s_ashr_i32 s17, s16, 31
	s_lshl_b64 s[22:23], s[16:17], 1
	s_add_u32 s17, s4, s22
	s_addc_u32 s22, s5, s23
	v_add_co_u32 v5, vcc_lo, s17, v5
	v_add_co_ci_u32_e64 v6, null, s22, v6, vcc_lo
	s_andn2_b32 vcc_lo, exec_lo, s21
	global_load_ushort v6, v[5:6], off
	v_lshlrev_b32_e32 v5, 1, v0
	s_waitcnt vmcnt(0)
	ds_write_b16 v5, v6
	s_cbranch_vccnz .LBB22_5
; %bb.4:
	global_load_dword v1, v[3:4], off
	s_waitcnt vmcnt(0)
	v_ashrrev_i32_e32 v2, 31, v1
.LBB22_5:
	s_add_i32 s16, s16, s1
	v_lshlrev_b64 v[1:2], 1, v[1:2]
	s_ashr_i32 s17, s16, 31
	s_lshl_b64 s[16:17], s[16:17], 1
	s_add_u32 s4, s4, s16
	s_addc_u32 s5, s5, s17
	v_add_co_u32 v1, vcc_lo, s4, v1
	v_add_co_ci_u32_e64 v2, null, s5, v2, vcc_lo
	global_load_ushort v1, v[1:2], off
	s_waitcnt vmcnt(0)
	ds_write_b16 v5, v1 offset:256
.LBB22_6:
	s_or_b32 exec_lo, exec_lo, s20
	v_lshlrev_b32_e32 v0, 2, v0
	s_mov_b32 s4, exec_lo
	v_lshl_add_u32 v8, s6, 9, v0
	v_cmpx_gt_i32_e64 s0, v8
	s_cbranch_execz .LBB22_20
; %bb.7:
	s_abs_i32 s4, s2
	v_mov_b32_e32 v21, 0
	v_cvt_f32_u32_e32 v0, s4
	v_mov_b32_e32 v20, 0
	v_mov_b32_e32 v19, 0
	;; [unrolled: 1-line block ×3, first 2 shown]
	s_cmp_ge_i32 s18, s19
	v_rcp_iflag_f32_e32 v0, v0
	s_mov_b32 s6, 0
	s_waitcnt lgkmcnt(0)
	s_barrier
	buffer_gl0_inv
	v_mul_f32_e32 v0, 0x4f7ffffe, v0
	v_cvt_u32_f32_e32 v0, v0
	v_readfirstlane_b32 s5, v0
	s_cbranch_scc1 .LBB22_12
; %bb.8:
	s_sub_i32 s16, 0, s4
	s_abs_i32 s17, s1
	s_mul_i32 s16, s16, s5
	s_ashr_i32 s1, s1, 31
	s_mul_hi_u32 s16, s5, s16
	s_ashr_i32 s2, s2, 31
	s_add_i32 s5, s5, s16
	s_xor_b32 s1, s1, s2
	s_mul_hi_u32 s5, s17, s5
	v_ashrrev_i32_e32 v14, 2, v8
	s_mul_i32 s16, s5, s4
	v_ashrrev_i32_e32 v9, 31, v8
	s_sub_i32 s2, s17, s16
	s_add_i32 s16, s5, 1
	s_sub_i32 s17, s2, s4
	s_cmp_ge_u32 s2, s4
	v_mov_b32_e32 v7, 0
	s_cselect_b32 s5, s16, s5
	s_cselect_b32 s2, s17, s2
	s_add_i32 s16, s5, 1
	s_cmp_ge_u32 s2, s4
	v_mov_b32_e32 v19, 0
	s_cselect_b32 s2, s16, s5
	v_mov_b32_e32 v20, 0
	s_xor_b32 s2, s2, s1
	v_mov_b32_e32 v21, 0
	s_sub_i32 s16, s2, s1
	s_bitcmp1_b32 s3, 0
	v_cvt_f32_u32_e32 v0, s16
	s_cselect_b32 s2, -1, 0
	s_sub_i32 s3, 0, s16
	s_xor_b32 s4, s2, -1
	v_rcp_iflag_f32_e32 v0, v0
	v_mul_f32_e32 v0, 0x4f7ffffe, v0
	v_cvt_u32_f32_e32 v0, v0
	v_readfirstlane_b32 s1, v0
	s_mul_i32 s3, s3, s1
	s_mul_hi_u32 s3, s1, s3
	s_add_i32 s1, s1, s3
	s_mul_hi_u32 s1, s18, s1
	s_mul_i32 s3, s1, s16
	s_sub_i32 s2, s18, s3
	s_add_i32 s3, s1, 1
	s_sub_i32 s5, s2, s16
	s_cmp_ge_u32 s2, s16
	s_cselect_b32 s1, s3, s1
	s_cselect_b32 s2, s5, s2
	s_add_i32 s3, s1, 1
	s_cmp_ge_u32 s2, s16
	s_cselect_b32 s17, s3, s1
	s_mul_i32 s1, s17, s0
	s_ashr_i32 s2, s1, 31
	v_add_nc_u32_e32 v2, s1, v8
	s_lshr_b32 s2, s2, 30
	s_add_i32 s2, s1, s2
	s_lshr_b32 s1, s18, 2
	s_ashr_i32 s2, s2, 2
	v_ashrrev_i32_e32 v3, 31, v2
	v_add_nc_u32_e32 v0, s2, v14
	s_mul_i32 s2, s0, s1
	s_ashr_i32 s3, s2, 31
	v_lshlrev_b64 v[2:3], 1, v[2:3]
	v_ashrrev_i32_e32 v1, 31, v0
	s_lshl_b64 s[2:3], s[2:3], 2
	s_add_u32 s2, s8, s2
	s_addc_u32 s3, s9, s3
	v_lshlrev_b64 v[0:1], 2, v[0:1]
	s_ashr_i32 s1, s0, 31
	s_add_i32 s8, s16, s18
	v_add_co_u32 v0, vcc_lo, s10, v0
	v_add_co_ci_u32_e64 v1, null, s11, v1, vcc_lo
	global_load_dword v4, v[0:1], off
	v_add_co_u32 v0, vcc_lo, s12, v2
	v_add_co_ci_u32_e64 v1, null, s13, v3, vcc_lo
	global_load_dwordx2 v[10:11], v[0:1], off
	v_lshlrev_b64 v[0:1], 2, v[8:9]
	v_cndmask_b32_e64 v9, 0, 1, s4
	s_lshl_b64 s[4:5], s[0:1], 2
	v_add_co_u32 v12, vcc_lo, s2, v0
	v_add_co_ci_u32_e64 v13, null, s3, v1, vcc_lo
	s_lshl_b64 s[2:3], s[0:1], 5
	s_waitcnt vmcnt(1)
	v_and_b32_e32 v15, 0xff, v4
	v_bfe_u32 v16, v4, 8, 8
	v_bfe_u32 v17, v4, 16, 8
	v_lshrrev_b32_e32 v18, 24, v4
	s_branch .LBB22_10
.LBB22_9:                               ;   in Loop: Header=BB22_10 Depth=1
	v_add_co_u32 v0, vcc_lo, v12, s4
	global_load_dwordx4 v[2:5], v[12:13], off
	v_add_co_ci_u32_e64 v1, null, s5, v13, vcc_lo
	v_add_nc_u32_e32 v24, v16, v9
	v_add_nc_u32_e32 v23, v17, v9
	;; [unrolled: 1-line block ×3, first 2 shown]
	global_load_dwordx4 v[26:29], v[0:1], off
	v_add_nc_u32_e32 v22, v18, v9
	v_mov_b32_e32 v6, s6
	v_add_co_u32 v0, vcc_lo, v0, s4
	v_add_co_ci_u32_e64 v1, null, s5, v1, vcc_lo
	s_add_i32 s18, s18, 32
	v_add_co_u32 v76, vcc_lo, v0, s4
	v_add_co_ci_u32_e64 v77, null, s5, v1, vcc_lo
	s_add_i32 s6, s6, 64
	s_cmp_ge_i32 s18, s19
	ds_read_b128 v[72:75], v6 offset:256
	s_waitcnt vmcnt(1)
	v_sub_nc_u32_sdwa v34, v3, v24 dst_sel:DWORD dst_unused:UNUSED_PAD src0_sel:BYTE_1 src1_sel:DWORD
	v_sub_nc_u32_sdwa v35, v3, v24 dst_sel:DWORD dst_unused:UNUSED_PAD src0_sel:BYTE_2 src1_sel:DWORD
	v_sub_nc_u32_sdwa v36, v4, v23 dst_sel:DWORD dst_unused:UNUSED_PAD src0_sel:BYTE_0 src1_sel:DWORD
	v_sub_nc_u32_sdwa v37, v4, v23 dst_sel:DWORD dst_unused:UNUSED_PAD src0_sel:BYTE_1 src1_sel:DWORD
	v_sub_nc_u32_sdwa v33, v3, v24 dst_sel:DWORD dst_unused:UNUSED_PAD src0_sel:BYTE_0 src1_sel:DWORD
	v_sub_nc_u32_sdwa v3, v3, v24 dst_sel:DWORD dst_unused:UNUSED_PAD src0_sel:BYTE_3 src1_sel:DWORD
	v_sub_nc_u32_sdwa v39, v5, v22 dst_sel:DWORD dst_unused:UNUSED_PAD src0_sel:BYTE_0 src1_sel:DWORD
	v_sub_nc_u32_sdwa v40, v5, v22 dst_sel:DWORD dst_unused:UNUSED_PAD src0_sel:BYTE_1 src1_sel:DWORD
	v_sub_nc_u32_sdwa v41, v5, v22 dst_sel:DWORD dst_unused:UNUSED_PAD src0_sel:BYTE_2 src1_sel:DWORD
	v_sub_nc_u32_sdwa v5, v5, v22 dst_sel:DWORD dst_unused:UNUSED_PAD src0_sel:BYTE_3 src1_sel:DWORD
	s_waitcnt vmcnt(0)
	v_sub_nc_u32_sdwa v42, v26, v25 dst_sel:DWORD dst_unused:UNUSED_PAD src0_sel:BYTE_0 src1_sel:DWORD
	v_sub_nc_u32_sdwa v43, v26, v25 dst_sel:DWORD dst_unused:UNUSED_PAD src0_sel:BYTE_1 src1_sel:DWORD
	v_sub_nc_u32_sdwa v44, v26, v25 dst_sel:DWORD dst_unused:UNUSED_PAD src0_sel:BYTE_2 src1_sel:DWORD
	v_sub_nc_u32_sdwa v45, v27, v24 dst_sel:DWORD dst_unused:UNUSED_PAD src0_sel:BYTE_0 src1_sel:DWORD
	v_cvt_f32_i32_e32 v34, v34
	v_cvt_f32_i32_e32 v35, v35
	;; [unrolled: 1-line block ×4, first 2 shown]
	v_sub_nc_u32_sdwa v38, v4, v23 dst_sel:DWORD dst_unused:UNUSED_PAD src0_sel:BYTE_2 src1_sel:DWORD
	v_sub_nc_u32_sdwa v4, v4, v23 dst_sel:DWORD dst_unused:UNUSED_PAD src0_sel:BYTE_3 src1_sel:DWORD
	v_sub_nc_u32_sdwa v57, v28, v23 dst_sel:DWORD dst_unused:UNUSED_PAD src0_sel:BYTE_1 src1_sel:DWORD
	v_sub_nc_u32_sdwa v59, v29, v22 dst_sel:DWORD dst_unused:UNUSED_PAD src0_sel:BYTE_0 src1_sel:DWORD
	v_sub_nc_u32_sdwa v61, v29, v22 dst_sel:DWORD dst_unused:UNUSED_PAD src0_sel:BYTE_2 src1_sel:DWORD
	v_cvt_f32_i32_e32 v51, v3
	v_cvt_f32_i32_e32 v41, v41
	;; [unrolled: 1-line block ×3, first 2 shown]
	v_cvt_f16_f32_e32 v50, v34
	v_cvt_f16_f32_e32 v5, v35
	;; [unrolled: 1-line block ×4, first 2 shown]
	v_cvt_f32_i32_e32 v34, v42
	v_cvt_f32_i32_e32 v35, v43
	;; [unrolled: 1-line block ×5, first 2 shown]
	v_cvt_f16_f32_e32 v4, v51
	v_cvt_f16_f32_e32 v51, v41
	v_cvt_f32_i32_e32 v41, v57
	v_cvt_f32_i32_e32 v43, v59
	;; [unrolled: 1-line block ×3, first 2 shown]
	v_cvt_f16_f32_e32 v61, v34
	v_cvt_f16_f32_e32 v59, v35
	;; [unrolled: 1-line block ×4, first 2 shown]
	ds_read_b128 v[34:37], v6
	v_sub_nc_u32_sdwa v30, v2, v25 dst_sel:DWORD dst_unused:UNUSED_PAD src0_sel:BYTE_0 src1_sel:DWORD
	v_sub_nc_u32_sdwa v32, v2, v25 dst_sel:DWORD dst_unused:UNUSED_PAD src0_sel:BYTE_2 src1_sel:DWORD
	v_sub_nc_u32_sdwa v31, v2, v25 dst_sel:DWORD dst_unused:UNUSED_PAD src0_sel:BYTE_1 src1_sel:DWORD
	v_sub_nc_u32_sdwa v26, v26, v25 dst_sel:DWORD dst_unused:UNUSED_PAD src0_sel:BYTE_3 src1_sel:DWORD
	v_sub_nc_u32_sdwa v46, v27, v24 dst_sel:DWORD dst_unused:UNUSED_PAD src0_sel:BYTE_1 src1_sel:DWORD
	v_sub_nc_u32_sdwa v47, v27, v24 dst_sel:DWORD dst_unused:UNUSED_PAD src0_sel:BYTE_2 src1_sel:DWORD
	v_sub_nc_u32_sdwa v27, v27, v24 dst_sel:DWORD dst_unused:UNUSED_PAD src0_sel:BYTE_3 src1_sel:DWORD
	v_cvt_f32_i32_e32 v30, v30
	v_cvt_f32_i32_e32 v49, v32
	;; [unrolled: 1-line block ×5, first 2 shown]
	v_sub_nc_u32_sdwa v56, v28, v23 dst_sel:DWORD dst_unused:UNUSED_PAD src0_sel:BYTE_0 src1_sel:DWORD
	v_sub_nc_u32_sdwa v58, v28, v23 dst_sel:DWORD dst_unused:UNUSED_PAD src0_sel:BYTE_2 src1_sel:DWORD
	v_sub_nc_u32_sdwa v60, v29, v22 dst_sel:DWORD dst_unused:UNUSED_PAD src0_sel:BYTE_1 src1_sel:DWORD
	v_cvt_f32_i32_e32 v48, v31
	v_cvt_f32_i32_e32 v40, v40
	v_cvt_f16_f32_e32 v31, v30
	v_cvt_f16_f32_e32 v3, v49
	;; [unrolled: 1-line block ×6, first 2 shown]
	v_cvt_f32_i32_e32 v26, v26
	v_cvt_f32_i32_e32 v38, v46
	;; [unrolled: 1-line block ×4, first 2 shown]
	v_sub_nc_u32_sdwa v2, v2, v25 dst_sel:DWORD dst_unused:UNUSED_PAD src0_sel:BYTE_3 src1_sel:DWORD
	v_sub_nc_u32_sdwa v28, v28, v23 dst_sel:DWORD dst_unused:UNUSED_PAD src0_sel:BYTE_3 src1_sel:DWORD
	v_cvt_f16_f32_e32 v32, v48
	v_cvt_f16_f32_e32 v55, v40
	;; [unrolled: 1-line block ×3, first 2 shown]
	v_cvt_f32_i32_e32 v40, v56
	v_cvt_f32_i32_e32 v42, v58
	;; [unrolled: 1-line block ×3, first 2 shown]
	v_cvt_f16_f32_e32 v56, v26
	v_cvt_f16_f32_e32 v62, v38
	;; [unrolled: 1-line block ×4, first 2 shown]
	s_waitcnt lgkmcnt(0)
	v_fma_mix_f32 v26, v31, v34, 0 op_sel_hi:[1,1,0]
	v_fma_mix_f32 v27, v49, v34, 0 op_sel_hi:[1,1,0]
	;; [unrolled: 1-line block ×4, first 2 shown]
	v_cvt_f32_i32_e32 v2, v2
	v_cvt_f32_i32_e32 v28, v28
	v_fma_mix_f32 v26, v32, v34, v26 op_sel:[0,1,0] op_sel_hi:[1,1,0]
	v_fma_mix_f32 v27, v50, v34, v27 op_sel:[0,1,0] op_sel_hi:[1,1,0]
	;; [unrolled: 1-line block ×4, first 2 shown]
	v_cvt_f16_f32_e32 v2, v2
	v_cvt_f16_f32_e32 v67, v28
	v_fma_mix_f32 v26, v3, v35, v26 op_sel_hi:[1,1,0]
	v_fma_mix_f32 v27, v5, v35, v27 op_sel_hi:[1,1,0]
	v_fma_mix_f32 v28, v33, v35, v38 op_sel_hi:[1,1,0]
	v_fma_mix_f32 v34, v51, v35, v34 op_sel_hi:[1,1,0]
	v_cvt_f16_f32_e32 v66, v40
	v_cvt_f16_f32_e32 v68, v43
	v_fma_mix_f32 v26, v2, v35, v26 op_sel:[0,1,0] op_sel_hi:[1,1,0]
	v_fma_mix_f32 v27, v4, v35, v27 op_sel:[0,1,0] op_sel_hi:[1,1,0]
	;; [unrolled: 1-line block ×4, first 2 shown]
	v_sub_nc_u32_sdwa v29, v29, v22 dst_sel:DWORD dst_unused:UNUSED_PAD src0_sel:BYTE_3 src1_sel:DWORD
	v_cvt_f16_f32_e32 v65, v41
	v_cvt_f16_f32_e32 v69, v44
	v_fma_mix_f32 v26, v61, v36, v26 op_sel_hi:[1,1,0]
	v_fma_mix_f32 v27, v64, v36, v27 op_sel_hi:[1,1,0]
	;; [unrolled: 1-line block ×4, first 2 shown]
	v_cvt_f32_i32_e32 v29, v29
	v_cvt_f16_f32_e32 v63, v42
	v_cvt_f16_f32_e32 v70, v45
	v_fma_mix_f32 v26, v59, v36, v26 op_sel:[0,1,0] op_sel_hi:[1,1,0]
	v_fma_mix_f32 v27, v62, v36, v27 op_sel:[0,1,0] op_sel_hi:[1,1,0]
	;; [unrolled: 1-line block ×4, first 2 shown]
	v_cvt_f16_f32_e32 v71, v29
	v_fma_mix_f32 v26, v57, v37, v26 op_sel_hi:[1,1,0]
	v_fma_mix_f32 v27, v60, v37, v27 op_sel_hi:[1,1,0]
	;; [unrolled: 1-line block ×4, first 2 shown]
	v_fma_mix_f32 v28, v56, v37, v26 op_sel:[0,1,0] op_sel_hi:[1,1,0]
	v_fma_mix_f32 v29, v58, v37, v27 op_sel:[0,1,0] op_sel_hi:[1,1,0]
	;; [unrolled: 1-line block ×4, first 2 shown]
	global_load_dwordx4 v[34:37], v[0:1], off
	v_fma_mix_f32 v0, v31, v72, 0 op_sel_hi:[1,1,0]
	v_fma_mix_f32 v1, v49, v72, 0 op_sel_hi:[1,1,0]
	;; [unrolled: 1-line block ×3, first 2 shown]
	v_fma_mix_f32 v0, v32, v72, v0 op_sel:[0,1,0] op_sel_hi:[1,1,0]
	v_fma_mix_f32 v1, v50, v72, v1 op_sel:[0,1,0] op_sel_hi:[1,1,0]
	v_fma_mix_f32 v31, v53, v72, v31 op_sel:[0,1,0] op_sel_hi:[1,1,0]
	v_fma_mix_f32 v32, v54, v72, 0 op_sel_hi:[1,1,0]
	v_fma_mix_f32 v0, v3, v73, v0 op_sel_hi:[1,1,0]
	v_fma_mix_f32 v1, v5, v73, v1 op_sel_hi:[1,1,0]
	v_fma_mix_f32 v3, v33, v73, v31 op_sel_hi:[1,1,0]
	v_fma_mix_f32 v32, v55, v72, v32 op_sel:[0,1,0] op_sel_hi:[1,1,0]
	v_fma_mix_f32 v0, v2, v73, v0 op_sel:[0,1,0] op_sel_hi:[1,1,0]
	v_fma_mix_f32 v1, v4, v73, v1 op_sel:[0,1,0] op_sel_hi:[1,1,0]
	v_fma_mix_f32 v2, v30, v73, v3 op_sel:[0,1,0] op_sel_hi:[1,1,0]
	v_fma_mix_f32 v5, v51, v73, v32 op_sel_hi:[1,1,0]
	v_fma_mix_f32 v0, v61, v74, v0 op_sel_hi:[1,1,0]
	v_fma_mix_f32 v1, v64, v74, v1 op_sel_hi:[1,1,0]
	v_fma_mix_f32 v2, v66, v74, v2 op_sel_hi:[1,1,0]
	v_fma_mix_f32 v3, v48, v73, v5 op_sel:[0,1,0] op_sel_hi:[1,1,0]
	;; [unrolled: 8-line block ×3, first 2 shown]
	v_fma_mix_f32 v32, v56, v75, v0 op_sel:[0,1,0] op_sel_hi:[1,1,0]
	v_fma_mix_f32 v33, v58, v75, v1 op_sel:[0,1,0] op_sel_hi:[1,1,0]
	;; [unrolled: 1-line block ×3, first 2 shown]
	v_fma_mix_f32 v4, v70, v75, v3 op_sel_hi:[1,1,0]
	global_load_dwordx4 v[0:3], v[76:77], off
	ds_read_b128 v[66:69], v6 offset:272
	v_fma_mix_f32 v31, v71, v75, v4 op_sel:[0,1,0] op_sel_hi:[1,1,0]
	v_add_co_u32 v4, vcc_lo, v76, s4
	v_add_co_ci_u32_e64 v5, null, s5, v77, vcc_lo
	s_waitcnt vmcnt(1)
	v_sub_nc_u32_sdwa v78, v34, v25 dst_sel:DWORD dst_unused:UNUSED_PAD src0_sel:BYTE_0 src1_sel:DWORD
	v_sub_nc_u32_sdwa v79, v34, v25 dst_sel:DWORD dst_unused:UNUSED_PAD src0_sel:BYTE_1 src1_sel:DWORD
	v_sub_nc_u32_sdwa v46, v35, v24 dst_sel:DWORD dst_unused:UNUSED_PAD src0_sel:BYTE_0 src1_sel:DWORD
	v_sub_nc_u32_sdwa v47, v35, v24 dst_sel:DWORD dst_unused:UNUSED_PAD src0_sel:BYTE_1 src1_sel:DWORD
	;; [unrolled: 2-line block ×3, first 2 shown]
	v_sub_nc_u32_sdwa v42, v37, v22 dst_sel:DWORD dst_unused:UNUSED_PAD src0_sel:BYTE_0 src1_sel:DWORD
	v_cvt_f32_i32_e32 v46, v46
	v_cvt_f32_i32_e32 v47, v47
	;; [unrolled: 1-line block ×3, first 2 shown]
	v_sub_nc_u32_sdwa v43, v37, v22 dst_sel:DWORD dst_unused:UNUSED_PAD src0_sel:BYTE_1 src1_sel:DWORD
	v_cvt_f32_i32_e32 v45, v45
	v_cvt_f16_f32_e32 v46, v46
	v_cvt_f16_f32_e32 v47, v47
	;; [unrolled: 1-line block ×3, first 2 shown]
	v_cvt_f32_i32_e32 v42, v42
	v_sub_nc_u32_sdwa v38, v34, v25 dst_sel:DWORD dst_unused:UNUSED_PAD src0_sel:BYTE_2 src1_sel:DWORD
	v_sub_nc_u32_sdwa v39, v35, v24 dst_sel:DWORD dst_unused:UNUSED_PAD src0_sel:BYTE_2 src1_sel:DWORD
	;; [unrolled: 1-line block ×4, first 2 shown]
	v_cvt_f16_f32_e32 v45, v45
	v_cvt_f32_i32_e32 v43, v43
	v_cvt_f16_f32_e32 v42, v42
	v_sub_nc_u32_sdwa v34, v34, v25 dst_sel:DWORD dst_unused:UNUSED_PAD src0_sel:BYTE_3 src1_sel:DWORD
	v_sub_nc_u32_sdwa v35, v35, v24 dst_sel:DWORD dst_unused:UNUSED_PAD src0_sel:BYTE_3 src1_sel:DWORD
	;; [unrolled: 1-line block ×4, first 2 shown]
	v_cvt_f16_f32_e32 v43, v43
	v_cvt_f32_i32_e32 v38, v38
	v_cvt_f32_i32_e32 v39, v39
	;; [unrolled: 1-line block ×5, first 2 shown]
	v_cvt_f16_f32_e32 v38, v38
	v_cvt_f16_f32_e32 v39, v39
	v_cvt_f16_f32_e32 v40, v40
	v_cvt_f16_f32_e32 v41, v41
	v_cvt_f32_i32_e32 v35, v35
	v_cvt_f32_i32_e32 v36, v36
	;; [unrolled: 1-line block ×3, first 2 shown]
	s_waitcnt vmcnt(0)
	v_sub_nc_u32_sdwa v60, v0, v25 dst_sel:DWORD dst_unused:UNUSED_PAD src0_sel:BYTE_0 src1_sel:DWORD
	v_sub_nc_u32_sdwa v57, v0, v25 dst_sel:DWORD dst_unused:UNUSED_PAD src0_sel:BYTE_1 src1_sel:DWORD
	v_sub_nc_u32_sdwa v48, v0, v25 dst_sel:DWORD dst_unused:UNUSED_PAD src0_sel:BYTE_2 src1_sel:DWORD
	v_sub_nc_u32_sdwa v49, v0, v25 dst_sel:DWORD dst_unused:UNUSED_PAD src0_sel:BYTE_3 src1_sel:DWORD
	v_sub_nc_u32_sdwa v61, v1, v24 dst_sel:DWORD dst_unused:UNUSED_PAD src0_sel:BYTE_0 src1_sel:DWORD
	v_sub_nc_u32_sdwa v58, v1, v24 dst_sel:DWORD dst_unused:UNUSED_PAD src0_sel:BYTE_1 src1_sel:DWORD
	v_sub_nc_u32_sdwa v50, v1, v24 dst_sel:DWORD dst_unused:UNUSED_PAD src0_sel:BYTE_2 src1_sel:DWORD
	v_sub_nc_u32_sdwa v51, v1, v24 dst_sel:DWORD dst_unused:UNUSED_PAD src0_sel:BYTE_3 src1_sel:DWORD
	v_cvt_f32_i32_e32 v0, v78
	v_cvt_f32_i32_e32 v1, v79
	v_sub_nc_u32_sdwa v62, v2, v23 dst_sel:DWORD dst_unused:UNUSED_PAD src0_sel:BYTE_0 src1_sel:DWORD
	v_sub_nc_u32_sdwa v59, v2, v23 dst_sel:DWORD dst_unused:UNUSED_PAD src0_sel:BYTE_1 src1_sel:DWORD
	v_sub_nc_u32_sdwa v52, v2, v23 dst_sel:DWORD dst_unused:UNUSED_PAD src0_sel:BYTE_2 src1_sel:DWORD
	v_sub_nc_u32_sdwa v53, v2, v23 dst_sel:DWORD dst_unused:UNUSED_PAD src0_sel:BYTE_3 src1_sel:DWORD
	v_sub_nc_u32_sdwa v63, v3, v22 dst_sel:DWORD dst_unused:UNUSED_PAD src0_sel:BYTE_0 src1_sel:DWORD
	v_sub_nc_u32_sdwa v54, v3, v22 dst_sel:DWORD dst_unused:UNUSED_PAD src0_sel:BYTE_1 src1_sel:DWORD
	v_sub_nc_u32_sdwa v55, v3, v22 dst_sel:DWORD dst_unused:UNUSED_PAD src0_sel:BYTE_2 src1_sel:DWORD
	v_sub_nc_u32_sdwa v56, v3, v22 dst_sel:DWORD dst_unused:UNUSED_PAD src0_sel:BYTE_3 src1_sel:DWORD
	v_cvt_f16_f32_e32 v65, v0
	v_cvt_f16_f32_e32 v64, v1
	ds_read_b128 v[0:3], v6 offset:16
	v_cvt_f16_f32_e32 v34, v34
	v_cvt_f16_f32_e32 v35, v35
	;; [unrolled: 1-line block ×4, first 2 shown]
	s_waitcnt lgkmcnt(0)
	v_fma_mix_f32 v70, v65, v0, 0 op_sel_hi:[1,1,0]
	v_fma_mix_f32 v65, v65, v66, 0 op_sel_hi:[1,1,0]
	v_fma_mix_f32 v70, v64, v0, v70 op_sel:[0,1,0] op_sel_hi:[1,1,0]
	v_fma_mix_f32 v64, v64, v66, v65 op_sel:[0,1,0] op_sel_hi:[1,1,0]
	v_fma_mix_f32 v65, v46, v0, 0 op_sel_hi:[1,1,0]
	v_fma_mix_f32 v46, v46, v66, 0 op_sel_hi:[1,1,0]
	v_fma_mix_f32 v65, v47, v0, v65 op_sel:[0,1,0] op_sel_hi:[1,1,0]
	v_fma_mix_f32 v46, v47, v66, v46 op_sel:[0,1,0] op_sel_hi:[1,1,0]
	;; [unrolled: 4-line block ×4, first 2 shown]
	v_fma_mix_f32 v43, v38, v1, v70 op_sel_hi:[1,1,0]
	v_fma_mix_f32 v38, v38, v67, v64 op_sel_hi:[1,1,0]
	;; [unrolled: 1-line block ×7, first 2 shown]
	v_fma_mix_f32 v42, v34, v1, v43 op_sel:[0,1,0] op_sel_hi:[1,1,0]
	v_fma_mix_f32 v34, v34, v67, v38 op_sel:[0,1,0] op_sel_hi:[1,1,0]
	;; [unrolled: 1-line block ×7, first 2 shown]
	v_cvt_f32_i32_e32 v37, v60
	v_fma_mix_f32 v40, v40, v67, v44 op_sel_hi:[1,1,0]
	v_cvt_f32_i32_e32 v46, v54
	v_cvt_f32_i32_e32 v47, v55
	;; [unrolled: 1-line block ×3, first 2 shown]
	v_cvt_f16_f32_e32 v37, v37
	v_fma_mix_f32 v36, v36, v67, v40 op_sel:[0,1,0] op_sel_hi:[1,1,0]
	v_cvt_f32_i32_e32 v44, v52
	v_cvt_f16_f32_e32 v47, v47
	v_cvt_f32_i32_e32 v43, v51
	v_fma_mix_f32 v40, v37, v2, v42 op_sel_hi:[1,1,0]
	v_fma_mix_f32 v34, v37, v68, v34 op_sel_hi:[1,1,0]
	v_cvt_f32_i32_e32 v37, v61
	v_cvt_f32_i32_e32 v42, v50
	v_cvt_f16_f32_e32 v44, v44
	v_cvt_f16_f32_e32 v45, v45
	;; [unrolled: 1-line block ×6, first 2 shown]
	v_fma_mix_f32 v38, v37, v2, v38 op_sel_hi:[1,1,0]
	v_fma_mix_f32 v35, v37, v68, v35 op_sel_hi:[1,1,0]
	v_cvt_f32_i32_e32 v37, v62
	v_cvt_f16_f32_e32 v37, v37
	v_fma_mix_f32 v39, v37, v2, v39 op_sel_hi:[1,1,0]
	v_fma_mix_f32 v36, v37, v68, v36 op_sel_hi:[1,1,0]
	v_cvt_f32_i32_e32 v37, v63
	v_cvt_f16_f32_e32 v37, v37
	v_fma_mix_f32 v0, v37, v2, v0 op_sel_hi:[1,1,0]
	v_fma_mix_f32 v1, v37, v68, v1 op_sel_hi:[1,1,0]
	v_cvt_f32_i32_e32 v37, v57
	v_fma_mix_f32 v0, v42, v2, v0 op_sel:[0,1,0] op_sel_hi:[1,1,0]
	v_cvt_f16_f32_e32 v37, v37
	v_fma_mix_f32 v0, v47, v3, v0 op_sel_hi:[1,1,0]
	v_fma_mix_f32 v41, v37, v68, v34 op_sel:[0,1,0] op_sel_hi:[1,1,0]
	v_cvt_f32_i32_e32 v34, v58
	v_fma_mix_f32 v40, v37, v2, v40 op_sel:[0,1,0] op_sel_hi:[1,1,0]
	v_cvt_f16_f32_e32 v34, v34
	v_fma_mix_f32 v37, v34, v2, v38 op_sel:[0,1,0] op_sel_hi:[1,1,0]
	v_fma_mix_f32 v35, v34, v68, v35 op_sel:[0,1,0] op_sel_hi:[1,1,0]
	v_cvt_f32_i32_e32 v34, v59
	v_cvt_f16_f32_e32 v34, v34
	v_fma_mix_f32 v38, v34, v2, v39 op_sel:[0,1,0] op_sel_hi:[1,1,0]
	v_fma_mix_f32 v39, v34, v68, v36 op_sel:[0,1,0] op_sel_hi:[1,1,0]
	v_cvt_f32_i32_e32 v34, v48
	v_cvt_f32_i32_e32 v36, v49
	;; [unrolled: 1-line block ×3, first 2 shown]
	v_fma_mix_f32 v38, v44, v3, v38 op_sel_hi:[1,1,0]
	global_load_dwordx4 v[49:52], v[4:5], off
	v_cvt_f16_f32_e32 v53, v34
	v_cvt_f16_f32_e32 v54, v36
	;; [unrolled: 1-line block ×3, first 2 shown]
	v_fma_mix_f32 v34, v55, v3, v37 op_sel_hi:[1,1,0]
	v_fma_mix_f32 v2, v53, v3, v40 op_sel_hi:[1,1,0]
	;; [unrolled: 1-line block ×3, first 2 shown]
	v_fma_mix_f32 v36, v46, v3, v34 op_sel:[0,1,0] op_sel_hi:[1,1,0]
	v_fma_mix_f32 v34, v45, v3, v38 op_sel:[0,1,0] op_sel_hi:[1,1,0]
	;; [unrolled: 1-line block ×5, first 2 shown]
	v_fma_mix_f32 v1, v53, v69, v41 op_sel_hi:[1,1,0]
	v_fma_mix_f32 v41, v44, v69, v39 op_sel_hi:[1,1,0]
	v_fma_mix_f32 v39, v46, v69, v40 op_sel:[0,1,0] op_sel_hi:[1,1,0]
	v_fma_mixlo_f16 v2, v2, v11, 0 op_sel:[0,1,0] op_sel_hi:[0,1,0]
	v_fma_mix_f32 v0, v47, v69, v0 op_sel_hi:[1,1,0]
	v_fma_mix_f32 v3, v54, v69, v1 op_sel:[0,1,0] op_sel_hi:[1,1,0]
	v_fma_mix_f32 v40, v45, v69, v41 op_sel:[0,1,0] op_sel_hi:[1,1,0]
	;; [unrolled: 1-line block ×3, first 2 shown]
	v_add_co_u32 v0, vcc_lo, v4, s4
	v_add_co_ci_u32_e64 v1, null, s5, v5, vcc_lo
	v_fma_mixlo_f16 v3, v3, v10, 0 op_sel_hi:[0,1,0]
	global_load_dwordx4 v[56:59], v[0:1], off
	v_add_co_u32 v0, vcc_lo, v0, s4
	v_add_co_ci_u32_e64 v1, null, s5, v1, vcc_lo
	s_waitcnt vmcnt(1)
	v_sub_nc_u32_sdwa v38, v49, v25 dst_sel:DWORD dst_unused:UNUSED_PAD src0_sel:BYTE_0 src1_sel:DWORD
	v_sub_nc_u32_sdwa v44, v49, v25 dst_sel:DWORD dst_unused:UNUSED_PAD src0_sel:BYTE_3 src1_sel:DWORD
	v_sub_nc_u32_sdwa v35, v50, v24 dst_sel:DWORD dst_unused:UNUSED_PAD src0_sel:BYTE_0 src1_sel:DWORD
	v_sub_nc_u32_sdwa v47, v50, v24 dst_sel:DWORD dst_unused:UNUSED_PAD src0_sel:BYTE_1 src1_sel:DWORD
	v_sub_nc_u32_sdwa v46, v51, v23 dst_sel:DWORD dst_unused:UNUSED_PAD src0_sel:BYTE_0 src1_sel:DWORD
	v_sub_nc_u32_sdwa v48, v51, v23 dst_sel:DWORD dst_unused:UNUSED_PAD src0_sel:BYTE_1 src1_sel:DWORD
	v_sub_nc_u32_sdwa v55, v51, v23 dst_sel:DWORD dst_unused:UNUSED_PAD src0_sel:BYTE_2 src1_sel:DWORD
	v_sub_nc_u32_sdwa v53, v51, v23 dst_sel:DWORD dst_unused:UNUSED_PAD src0_sel:BYTE_3 src1_sel:DWORD
	v_sub_nc_u32_sdwa v62, v52, v22 dst_sel:DWORD dst_unused:UNUSED_PAD src0_sel:BYTE_0 src1_sel:DWORD
	v_sub_nc_u32_sdwa v63, v52, v22 dst_sel:DWORD dst_unused:UNUSED_PAD src0_sel:BYTE_1 src1_sel:DWORD
	v_sub_nc_u32_sdwa v64, v52, v22 dst_sel:DWORD dst_unused:UNUSED_PAD src0_sel:BYTE_2 src1_sel:DWORD
	v_sub_nc_u32_sdwa v65, v52, v22 dst_sel:DWORD dst_unused:UNUSED_PAD src0_sel:BYTE_3 src1_sel:DWORD
	v_cvt_f32_i32_e32 v38, v38
	v_sub_nc_u32_sdwa v42, v49, v25 dst_sel:DWORD dst_unused:UNUSED_PAD src0_sel:BYTE_1 src1_sel:DWORD
	v_sub_nc_u32_sdwa v43, v49, v25 dst_sel:DWORD dst_unused:UNUSED_PAD src0_sel:BYTE_2 src1_sel:DWORD
	v_sub_nc_u32_sdwa v49, v50, v24 dst_sel:DWORD dst_unused:UNUSED_PAD src0_sel:BYTE_2 src1_sel:DWORD
	v_cvt_f32_i32_e32 v47, v47
	v_cvt_f32_i32_e32 v55, v55
	;; [unrolled: 1-line block ×7, first 2 shown]
	v_cvt_f16_f32_e32 v45, v42
	v_sub_nc_u32_sdwa v50, v50, v24 dst_sel:DWORD dst_unused:UNUSED_PAD src0_sel:BYTE_3 src1_sel:DWORD
	v_cvt_f32_i32_e32 v43, v43
	v_cvt_f32_i32_e32 v64, v64
	;; [unrolled: 1-line block ×3, first 2 shown]
	v_cvt_f16_f32_e32 v43, v43
	s_waitcnt vmcnt(0)
	v_sub_nc_u32_sdwa v4, v56, v25 dst_sel:DWORD dst_unused:UNUSED_PAD src0_sel:BYTE_0 src1_sel:DWORD
	v_sub_nc_u32_sdwa v5, v56, v25 dst_sel:DWORD dst_unused:UNUSED_PAD src0_sel:BYTE_1 src1_sel:DWORD
	v_sub_nc_u32_sdwa v51, v56, v25 dst_sel:DWORD dst_unused:UNUSED_PAD src0_sel:BYTE_2 src1_sel:DWORD
	v_sub_nc_u32_sdwa v52, v56, v25 dst_sel:DWORD dst_unused:UNUSED_PAD src0_sel:BYTE_3 src1_sel:DWORD
	v_sub_nc_u32_sdwa v56, v57, v24 dst_sel:DWORD dst_unused:UNUSED_PAD src0_sel:BYTE_1 src1_sel:DWORD
	v_sub_nc_u32_sdwa v66, v58, v23 dst_sel:DWORD dst_unused:UNUSED_PAD src0_sel:BYTE_0 src1_sel:DWORD
	v_sub_nc_u32_sdwa v69, v58, v23 dst_sel:DWORD dst_unused:UNUSED_PAD src0_sel:BYTE_1 src1_sel:DWORD
	v_sub_nc_u32_sdwa v70, v58, v23 dst_sel:DWORD dst_unused:UNUSED_PAD src0_sel:BYTE_2 src1_sel:DWORD
	v_sub_nc_u32_sdwa v71, v58, v23 dst_sel:DWORD dst_unused:UNUSED_PAD src0_sel:BYTE_3 src1_sel:DWORD
	v_cvt_f32_i32_e32 v58, v44
	v_sub_nc_u32_sdwa v54, v57, v24 dst_sel:DWORD dst_unused:UNUSED_PAD src0_sel:BYTE_0 src1_sel:DWORD
	v_sub_nc_u32_sdwa v60, v57, v24 dst_sel:DWORD dst_unused:UNUSED_PAD src0_sel:BYTE_2 src1_sel:DWORD
	v_cvt_f16_f32_e32 v44, v38
	v_cvt_f32_i32_e32 v5, v5
	v_cvt_f16_f32_e32 v38, v58
	v_cvt_f32_i32_e32 v51, v51
	v_cvt_f32_i32_e32 v58, v35
	;; [unrolled: 1-line block ×5, first 2 shown]
	v_cvt_f16_f32_e32 v35, v5
	v_cvt_f16_f32_e32 v5, v51
	;; [unrolled: 1-line block ×3, first 2 shown]
	v_cvt_f32_i32_e32 v58, v54
	v_cvt_f16_f32_e32 v54, v47
	v_cvt_f16_f32_e32 v47, v56
	v_cvt_f32_i32_e32 v56, v60
	v_sub_nc_u32_sdwa v57, v57, v24 dst_sel:DWORD dst_unused:UNUSED_PAD src0_sel:BYTE_3 src1_sel:DWORD
	v_sub_nc_u32_sdwa v72, v59, v22 dst_sel:DWORD dst_unused:UNUSED_PAD src0_sel:BYTE_0 src1_sel:DWORD
	v_sub_nc_u32_sdwa v73, v59, v22 dst_sel:DWORD dst_unused:UNUSED_PAD src0_sel:BYTE_1 src1_sel:DWORD
	v_sub_nc_u32_sdwa v68, v59, v22 dst_sel:DWORD dst_unused:UNUSED_PAD src0_sel:BYTE_2 src1_sel:DWORD
	v_sub_nc_u32_sdwa v67, v59, v22 dst_sel:DWORD dst_unused:UNUSED_PAD src0_sel:BYTE_3 src1_sel:DWORD
	v_cvt_f16_f32_e32 v42, v4
	v_cvt_f16_f32_e32 v4, v52
	;; [unrolled: 1-line block ×4, first 2 shown]
	v_cvt_f32_i32_e32 v58, v46
	v_cvt_f32_i32_e32 v59, v48
	v_cvt_f16_f32_e32 v48, v56
	v_cvt_f32_i32_e32 v56, v69
	v_cvt_f32_i32_e32 v69, v71
	;; [unrolled: 1-line block ×3, first 2 shown]
	v_cvt_f16_f32_e32 v60, v58
	v_cvt_f16_f32_e32 v61, v59
	;; [unrolled: 1-line block ×3, first 2 shown]
	v_cvt_f32_i32_e32 v55, v66
	v_cvt_f32_i32_e32 v66, v70
	v_cvt_f16_f32_e32 v59, v53
	v_cvt_f16_f32_e32 v53, v69
	v_cvt_f32_i32_e32 v69, v65
	v_cvt_f16_f32_e32 v46, v57
	v_cvt_f16_f32_e32 v57, v55
	;; [unrolled: 1-line block ×3, first 2 shown]
	v_cvt_f32_i32_e32 v70, v72
	v_cvt_f16_f32_e32 v66, v63
	v_cvt_f16_f32_e32 v63, v69
	v_cvt_f32_i32_e32 v69, v73
	ds_read_b128 v[71:74], v6 offset:32
	v_cvt_f16_f32_e32 v65, v62
	v_cvt_f16_f32_e32 v62, v70
	;; [unrolled: 1-line block ×4, first 2 shown]
	v_cvt_f32_i32_e32 v68, v68
	v_cvt_f16_f32_e32 v56, v56
	v_cvt_f32_i32_e32 v67, v67
	s_waitcnt lgkmcnt(0)
	v_fma_mix_f32 v70, v44, v71, 0 op_sel_hi:[1,1,0]
	v_fma_mix_f32 v75, v51, v71, 0 op_sel_hi:[1,1,0]
	v_fma_mix_f32 v76, v60, v71, 0 op_sel_hi:[1,1,0]
	v_fma_mix_f32 v77, v65, v71, 0 op_sel_hi:[1,1,0]
	v_fma_mix_f32 v70, v45, v71, v70 op_sel:[0,1,0] op_sel_hi:[1,1,0]
	v_fma_mix_f32 v75, v54, v71, v75 op_sel:[0,1,0] op_sel_hi:[1,1,0]
	v_fma_mix_f32 v76, v61, v71, v76 op_sel:[0,1,0] op_sel_hi:[1,1,0]
	v_fma_mix_f32 v77, v66, v71, v77 op_sel:[0,1,0] op_sel_hi:[1,1,0]
	v_cvt_f16_f32_e32 v71, v69
	v_fma_mix_f32 v69, v43, v72, v70 op_sel_hi:[1,1,0]
	v_fma_mix_f32 v70, v52, v72, v75 op_sel_hi:[1,1,0]
	v_fma_mix_f32 v75, v58, v72, v76 op_sel_hi:[1,1,0]
	v_fma_mix_f32 v76, v64, v72, v77 op_sel_hi:[1,1,0]
	v_fma_mix_f32 v69, v38, v72, v69 op_sel:[0,1,0] op_sel_hi:[1,1,0]
	v_fma_mix_f32 v70, v50, v72, v70 op_sel:[0,1,0] op_sel_hi:[1,1,0]
	v_fma_mix_f32 v75, v59, v72, v75 op_sel:[0,1,0] op_sel_hi:[1,1,0]
	v_fma_mix_f32 v76, v63, v72, v76 op_sel:[0,1,0] op_sel_hi:[1,1,0]
	v_cvt_f16_f32_e32 v72, v68
	;; [unrolled: 9-line block ×3, first 2 shown]
	v_fma_mix_f32 v67, v5, v74, v68 op_sel_hi:[1,1,0]
	v_fma_mix_f32 v68, v48, v74, v69 op_sel_hi:[1,1,0]
	;; [unrolled: 1-line block ×4, first 2 shown]
	v_fma_mix_f32 v70, v4, v74, v67 op_sel:[0,1,0] op_sel_hi:[1,1,0]
	v_fma_mix_f32 v69, v46, v74, v68 op_sel:[0,1,0] op_sel_hi:[1,1,0]
	;; [unrolled: 1-line block ×4, first 2 shown]
	ds_read_b128 v[74:77], v6 offset:288
	s_waitcnt lgkmcnt(0)
	v_fma_mix_f32 v44, v44, v74, 0 op_sel_hi:[1,1,0]
	v_fma_mix_f32 v44, v45, v74, v44 op_sel:[0,1,0] op_sel_hi:[1,1,0]
	v_fma_mix_f32 v45, v51, v74, 0 op_sel_hi:[1,1,0]
	v_fma_mix_f32 v51, v60, v74, 0 op_sel_hi:[1,1,0]
	;; [unrolled: 1-line block ×3, first 2 shown]
	v_fma_mix_f32 v45, v54, v74, v45 op_sel:[0,1,0] op_sel_hi:[1,1,0]
	v_fma_mix_f32 v51, v61, v74, v51 op_sel:[0,1,0] op_sel_hi:[1,1,0]
	;; [unrolled: 1-line block ×3, first 2 shown]
	v_fma_mix_f32 v44, v52, v75, v45 op_sel_hi:[1,1,0]
	v_fma_mix_f32 v45, v58, v75, v51 op_sel_hi:[1,1,0]
	;; [unrolled: 1-line block ×4, first 2 shown]
	v_fma_mix_f32 v43, v50, v75, v44 op_sel:[0,1,0] op_sel_hi:[1,1,0]
	v_fma_mix_f32 v44, v59, v75, v45 op_sel:[0,1,0] op_sel_hi:[1,1,0]
	;; [unrolled: 1-line block ×4, first 2 shown]
	v_fma_mix_f32 v42, v49, v76, v43 op_sel_hi:[1,1,0]
	v_fma_mix_f32 v43, v57, v76, v44 op_sel_hi:[1,1,0]
	v_fma_mix_f32 v45, v64, v75, v51 op_sel_hi:[1,1,0]
	v_fma_mix_f32 v5, v5, v77, v35 op_sel_hi:[1,1,0]
	v_fma_mix_f32 v38, v47, v76, v42 op_sel:[0,1,0] op_sel_hi:[1,1,0]
	v_fma_mix_f32 v42, v56, v76, v43 op_sel:[0,1,0] op_sel_hi:[1,1,0]
	;; [unrolled: 1-line block ×4, first 2 shown]
	v_fma_mix_f32 v35, v48, v77, v38 op_sel_hi:[1,1,0]
	v_fma_mix_f32 v38, v55, v77, v42 op_sel_hi:[1,1,0]
	;; [unrolled: 1-line block ×3, first 2 shown]
	v_fma_mix_f32 v58, v46, v77, v35 op_sel:[0,1,0] op_sel_hi:[1,1,0]
	v_fma_mix_f32 v66, v53, v77, v38 op_sel:[0,1,0] op_sel_hi:[1,1,0]
	;; [unrolled: 1-line block ×3, first 2 shown]
	global_load_dwordx4 v[43:46], v[0:1], off
	v_add_co_u32 v0, vcc_lo, v0, s4
	v_add_co_ci_u32_e64 v1, null, s5, v1, vcc_lo
	v_fma_mix_f32 v4, v72, v77, v42 op_sel_hi:[1,1,0]
	v_add_co_u32 v12, vcc_lo, v12, s2
	v_add_co_ci_u32_e64 v13, null, s3, v13, vcc_lo
	v_fma_mix_f32 v75, v73, v77, v4 op_sel:[0,1,0] op_sel_hi:[1,1,0]
	global_load_dwordx4 v[71:74], v[0:1], off
	v_fma_mixlo_f16 v0, v28, v10, 0 op_sel_hi:[0,1,0]
	v_fma_mixlo_f16 v1, v29, v10, 0 op_sel:[0,1,0] op_sel_hi:[0,1,0]
	v_add_f16_e32 v0, v21, v0
	v_add_f16_sdwa v1, v21, v1 dst_sel:DWORD dst_unused:UNUSED_PAD src0_sel:WORD_1 src1_sel:DWORD
	v_fma_mixlo_f16 v21, v26, v11, 0 op_sel_hi:[0,1,0]
	v_fma_mixlo_f16 v26, v31, v11, 0 op_sel:[0,1,0] op_sel_hi:[0,1,0]
	v_add_f16_e32 v21, v20, v21
	s_waitcnt vmcnt(1)
	v_sub_nc_u32_sdwa v76, v43, v25 dst_sel:DWORD dst_unused:UNUSED_PAD src0_sel:BYTE_0 src1_sel:DWORD
	v_sub_nc_u32_sdwa v77, v43, v25 dst_sel:DWORD dst_unused:UNUSED_PAD src0_sel:BYTE_1 src1_sel:DWORD
	v_sub_nc_u32_sdwa v78, v43, v25 dst_sel:DWORD dst_unused:UNUSED_PAD src0_sel:BYTE_2 src1_sel:DWORD
	v_sub_nc_u32_sdwa v79, v43, v25 dst_sel:DWORD dst_unused:UNUSED_PAD src0_sel:BYTE_3 src1_sel:DWORD
	v_sub_nc_u32_sdwa v5, v44, v24 dst_sel:DWORD dst_unused:UNUSED_PAD src0_sel:BYTE_0 src1_sel:DWORD
	v_sub_nc_u32_sdwa v54, v44, v24 dst_sel:DWORD dst_unused:UNUSED_PAD src0_sel:BYTE_1 src1_sel:DWORD
	v_sub_nc_u32_sdwa v55, v44, v24 dst_sel:DWORD dst_unused:UNUSED_PAD src0_sel:BYTE_2 src1_sel:DWORD
	v_sub_nc_u32_sdwa v4, v44, v24 dst_sel:DWORD dst_unused:UNUSED_PAD src0_sel:BYTE_3 src1_sel:DWORD
	;; [unrolled: 4-line block ×4, first 2 shown]
	s_waitcnt vmcnt(0)
	v_sub_nc_u32_sdwa v65, v71, v25 dst_sel:DWORD dst_unused:UNUSED_PAD src0_sel:BYTE_0 src1_sel:DWORD
	v_sub_nc_u32_sdwa v64, v71, v25 dst_sel:DWORD dst_unused:UNUSED_PAD src0_sel:BYTE_1 src1_sel:DWORD
	v_sub_nc_u32_sdwa v63, v71, v25 dst_sel:DWORD dst_unused:UNUSED_PAD src0_sel:BYTE_2 src1_sel:DWORD
	v_sub_nc_u32_sdwa v56, v71, v25 dst_sel:DWORD dst_unused:UNUSED_PAD src0_sel:BYTE_3 src1_sel:DWORD
	v_sub_nc_u32_sdwa v62, v72, v24 dst_sel:DWORD dst_unused:UNUSED_PAD src0_sel:BYTE_0 src1_sel:DWORD
	v_sub_nc_u32_sdwa v61, v72, v24 dst_sel:DWORD dst_unused:UNUSED_PAD src0_sel:BYTE_1 src1_sel:DWORD
	v_sub_nc_u32_sdwa v60, v72, v24 dst_sel:DWORD dst_unused:UNUSED_PAD src0_sel:BYTE_2 src1_sel:DWORD
	v_sub_nc_u32_sdwa v59, v72, v24 dst_sel:DWORD dst_unused:UNUSED_PAD src0_sel:BYTE_3 src1_sel:DWORD
	v_sub_nc_u32_sdwa v25, v74, v22 dst_sel:DWORD dst_unused:UNUSED_PAD src0_sel:BYTE_0 src1_sel:DWORD
	v_sub_nc_u32_sdwa v42, v74, v22 dst_sel:DWORD dst_unused:UNUSED_PAD src0_sel:BYTE_1 src1_sel:DWORD
	v_sub_nc_u32_sdwa v43, v74, v22 dst_sel:DWORD dst_unused:UNUSED_PAD src0_sel:BYTE_2 src1_sel:DWORD
	v_sub_nc_u32_sdwa v24, v74, v22 dst_sel:DWORD dst_unused:UNUSED_PAD src0_sel:BYTE_3 src1_sel:DWORD
	v_fma_mixlo_f16 v22, v27, v11, 0 op_sel:[0,1,0] op_sel_hi:[0,1,0]
	v_sub_nc_u32_sdwa v50, v73, v23 dst_sel:DWORD dst_unused:UNUSED_PAD src0_sel:BYTE_0 src1_sel:DWORD
	v_sub_nc_u32_sdwa v49, v73, v23 dst_sel:DWORD dst_unused:UNUSED_PAD src0_sel:BYTE_1 src1_sel:DWORD
	v_sub_nc_u32_sdwa v47, v73, v23 dst_sel:DWORD dst_unused:UNUSED_PAD src0_sel:BYTE_2 src1_sel:DWORD
	v_sub_nc_u32_sdwa v46, v73, v23 dst_sel:DWORD dst_unused:UNUSED_PAD src0_sel:BYTE_3 src1_sel:DWORD
	v_add_f16_sdwa v20, v20, v22 dst_sel:DWORD dst_unused:UNUSED_PAD src0_sel:WORD_1 src1_sel:DWORD
	v_fma_mixlo_f16 v22, v32, v10, 0 op_sel_hi:[0,1,0]
	v_fma_mixlo_f16 v23, v33, v10, 0 op_sel:[0,1,0] op_sel_hi:[0,1,0]
	v_cvt_f32_i32_e32 v29, v78
	v_cvt_f32_i32_e32 v31, v65
	v_add_f16_e32 v2, v20, v2
	v_add_f16_e32 v22, v19, v22
	v_add_f16_sdwa v19, v19, v23 dst_sel:DWORD dst_unused:UNUSED_PAD src0_sel:WORD_1 src1_sel:DWORD
	v_fma_mixlo_f16 v23, v30, v11, 0 op_sel_hi:[0,1,0]
	v_fma_mixlo_f16 v20, v39, v10, 0 op_sel:[0,1,0] op_sel_hi:[0,1,0]
	v_cvt_f16_f32_e32 v33, v31
	v_add_f16_e32 v3, v22, v3
	v_cvt_f32_i32_e32 v31, v63
	v_add_f16_e32 v23, v7, v23
	v_add_f16_e32 v22, v19, v20
	v_fma_mixlo_f16 v19, v40, v11, 0 op_sel_hi:[0,1,0]
	v_add_f16_sdwa v7, v7, v26 dst_sel:DWORD dst_unused:UNUSED_PAD src0_sel:WORD_1 src1_sel:DWORD
	v_fma_mixlo_f16 v26, v37, v10, 0 op_sel_hi:[0,1,0]
	v_cvt_f16_f32_e32 v31, v31
	v_cvt_f32_i32_e32 v5, v5
	v_add_f16_e32 v23, v23, v19
	v_fma_mixlo_f16 v19, v41, v11, 0 op_sel:[0,1,0] op_sel_hi:[0,1,0]
	v_add_f16_e32 v0, v0, v26
	v_fma_mixlo_f16 v26, v36, v10, 0 op_sel:[0,1,0] op_sel_hi:[0,1,0]
	v_cvt_f32_i32_e32 v4, v4
	v_cvt_f32_i32_e32 v53, v53
	v_add_f16_e32 v27, v7, v19
	v_fma_mixlo_f16 v7, v70, v10, 0 op_sel_hi:[0,1,0]
	v_add_f16_e32 v1, v1, v26
	v_fma_mixlo_f16 v26, v34, v11, 0 op_sel_hi:[0,1,0]
	v_cvt_f16_f32_e32 v41, v4
	v_cvt_f32_i32_e32 v51, v51
	v_add_f16_e32 v28, v0, v7
	v_fma_mixlo_f16 v0, v69, v10, 0 op_sel:[0,1,0] op_sel_hi:[0,1,0]
	v_add_f16_e32 v21, v21, v26
	v_cvt_f16_f32_e32 v53, v53
	v_cvt_f32_i32_e32 v45, v45
	v_cvt_f16_f32_e32 v51, v51
	v_add_f16_e32 v7, v1, v0
	v_fma_mixlo_f16 v0, v68, v11, 0 op_sel_hi:[0,1,0]
	v_fma_mixlo_f16 v1, v75, v11, 0 op_sel:[0,1,0] op_sel_hi:[0,1,0]
	v_cvt_f32_i32_e32 v44, v44
	v_cvt_f16_f32_e32 v45, v45
	v_cvt_f32_i32_e32 v52, v52
	v_add_f16_e32 v26, v21, v0
	v_fma_mixlo_f16 v0, v67, v11, 0 op_sel:[0,1,0] op_sel_hi:[0,1,0]
	v_cvt_f16_f32_e32 v44, v44
	v_cvt_f32_i32_e32 v38, v38
	v_cvt_f16_f32_e32 v52, v52
	v_cvt_f32_i32_e32 v48, v48
	v_add_f16_e32 v19, v2, v0
	v_fma_mixlo_f16 v0, v57, v10, 0 op_sel_hi:[0,1,0]
	v_cvt_f32_i32_e32 v2, v76
	v_cvt_f32_i32_e32 v35, v35
	v_cvt_f16_f32_e32 v38, v38
	v_cvt_f32_i32_e32 v50, v50
	v_add_f16_e32 v20, v3, v0
	v_fma_mixlo_f16 v0, v58, v10, 0 op_sel:[0,1,0] op_sel_hi:[0,1,0]
	v_cvt_f32_i32_e32 v3, v77
	v_cvt_f16_f32_e32 v57, v2
	v_cvt_f16_f32_e32 v48, v48
	v_cvt_f32_i32_e32 v25, v25
	v_add_f16_e32 v21, v22, v0
	v_fma_mixlo_f16 v0, v66, v11, 0 op_sel_hi:[0,1,0]
	v_add_f16_e32 v22, v27, v1
	v_cvt_f16_f32_e32 v58, v3
	v_cvt_f16_f32_e32 v27, v29
	v_cvt_f32_i32_e32 v29, v79
	v_add_f16_e32 v23, v23, v0
	ds_read_b128 v[0:3], v6 offset:48
	v_cvt_f16_f32_e32 v35, v35
	v_cvt_f16_f32_e32 v50, v50
	;; [unrolled: 1-line block ×3, first 2 shown]
	v_cvt_f32_i32_e32 v49, v49
	v_cvt_f32_i32_e32 v42, v42
	v_cvt_f16_f32_e32 v25, v25
	v_cvt_f32_i32_e32 v47, v47
	v_cvt_f32_i32_e32 v43, v43
	v_cvt_f16_f32_e32 v49, v49
	v_cvt_f16_f32_e32 v42, v42
	v_cvt_f32_i32_e32 v46, v46
	v_cvt_f16_f32_e32 v47, v47
	v_cvt_f32_i32_e32 v24, v24
	v_cvt_f16_f32_e32 v43, v43
	v_cvt_f16_f32_e32 v46, v46
	;; [unrolled: 1-line block ×3, first 2 shown]
	s_waitcnt lgkmcnt(0)
	v_fma_mix_f32 v30, v57, v0, 0 op_sel_hi:[1,1,0]
	v_fma_mix_f32 v30, v58, v0, v30 op_sel:[0,1,0] op_sel_hi:[1,1,0]
	v_fma_mix_f32 v29, v27, v1, v30 op_sel_hi:[1,1,0]
	v_cvt_f32_i32_e32 v30, v64
	v_fma_mix_f32 v29, v34, v1, v29 op_sel:[0,1,0] op_sel_hi:[1,1,0]
	v_cvt_f16_f32_e32 v32, v30
	v_cvt_f32_i32_e32 v30, v56
	v_fma_mix_f32 v29, v33, v2, v29 op_sel_hi:[1,1,0]
	v_fma_mix_f32 v36, v32, v2, v29 op_sel:[0,1,0] op_sel_hi:[1,1,0]
	v_cvt_f16_f32_e32 v29, v30
	v_fma_mix_f32 v30, v31, v3, v36 op_sel_hi:[1,1,0]
	v_cvt_f32_i32_e32 v36, v55
	v_cvt_f16_f32_e32 v55, v5
	v_fma_mix_f32 v30, v29, v3, v30 op_sel:[0,1,0] op_sel_hi:[1,1,0]
	v_fma_mix_f32 v5, v55, v0, 0 op_sel_hi:[1,1,0]
	v_fma_mixlo_f16 v30, v30, v10, 0 op_sel_hi:[0,1,0]
	v_add_f16_e32 v28, v28, v30
	v_cvt_f32_i32_e32 v30, v54
	v_cvt_f16_f32_e32 v54, v36
	v_cvt_f16_f32_e32 v56, v30
	v_cvt_f32_i32_e32 v30, v62
	v_fma_mix_f32 v5, v56, v0, v5 op_sel:[0,1,0] op_sel_hi:[1,1,0]
	v_cvt_f16_f32_e32 v40, v30
	v_cvt_f32_i32_e32 v30, v60
	v_fma_mix_f32 v4, v54, v1, v5 op_sel_hi:[1,1,0]
	v_cvt_f32_i32_e32 v5, v61
	v_cvt_f16_f32_e32 v37, v30
	v_fma_mix_f32 v4, v41, v1, v4 op_sel:[0,1,0] op_sel_hi:[1,1,0]
	v_cvt_f16_f32_e32 v39, v5
	v_cvt_f32_i32_e32 v5, v59
	v_fma_mix_f32 v4, v40, v2, v4 op_sel_hi:[1,1,0]
	v_cvt_f16_f32_e32 v36, v5
	v_fma_mix_f32 v4, v39, v2, v4 op_sel:[0,1,0] op_sel_hi:[1,1,0]
	v_fma_mix_f32 v4, v37, v3, v4 op_sel_hi:[1,1,0]
	v_fma_mix_f32 v4, v36, v3, v4 op_sel:[0,1,0] op_sel_hi:[1,1,0]
	v_fma_mixlo_f16 v4, v4, v10, 0 op_sel:[0,1,0] op_sel_hi:[0,1,0]
	v_add_f16_e32 v30, v7, v4
	ds_read_b128 v[4:7], v6 offset:304
	s_waitcnt lgkmcnt(0)
	v_fma_mix_f32 v57, v57, v4, 0 op_sel_hi:[1,1,0]
	v_fma_mix_f32 v55, v55, v4, 0 op_sel_hi:[1,1,0]
	v_fma_mix_f32 v57, v58, v4, v57 op_sel:[0,1,0] op_sel_hi:[1,1,0]
	v_fma_mix_f32 v58, v53, v0, 0 op_sel_hi:[1,1,0]
	v_fma_mix_f32 v53, v53, v4, 0 op_sel_hi:[1,1,0]
	v_fma_mix_f32 v55, v56, v4, v55 op_sel:[0,1,0] op_sel_hi:[1,1,0]
	v_fma_mix_f32 v27, v27, v5, v57 op_sel_hi:[1,1,0]
	v_fma_mix_f32 v58, v51, v0, v58 op_sel:[0,1,0] op_sel_hi:[1,1,0]
	v_fma_mix_f32 v51, v51, v4, v53 op_sel:[0,1,0] op_sel_hi:[1,1,0]
	v_fma_mix_f32 v53, v45, v0, 0 op_sel_hi:[1,1,0]
	v_fma_mix_f32 v45, v45, v4, 0 op_sel_hi:[1,1,0]
	;; [unrolled: 1-line block ×3, first 2 shown]
	v_fma_mix_f32 v0, v44, v0, v53 op_sel:[0,1,0] op_sel_hi:[1,1,0]
	v_fma_mix_f32 v4, v44, v4, v45 op_sel:[0,1,0] op_sel_hi:[1,1,0]
	v_fma_mix_f32 v44, v54, v5, v55 op_sel_hi:[1,1,0]
	v_fma_mix_f32 v45, v52, v5, v51 op_sel_hi:[1,1,0]
	v_fma_mix_f32 v58, v48, v1, v58 op_sel:[0,1,0] op_sel_hi:[1,1,0]
	v_fma_mix_f32 v0, v38, v1, v0 op_sel_hi:[1,1,0]
	v_fma_mix_f32 v4, v38, v5, v4 op_sel_hi:[1,1,0]
	;; [unrolled: 1-line block ×3, first 2 shown]
	v_fma_mix_f32 v0, v35, v1, v0 op_sel:[0,1,0] op_sel_hi:[1,1,0]
	v_fma_mix_f32 v1, v34, v5, v27 op_sel:[0,1,0] op_sel_hi:[1,1,0]
	;; [unrolled: 1-line block ×5, first 2 shown]
	v_fma_mix_f32 v0, v25, v2, v0 op_sel_hi:[1,1,0]
	v_fma_mix_f32 v1, v33, v6, v1 op_sel_hi:[1,1,0]
	;; [unrolled: 1-line block ×5, first 2 shown]
	v_fma_mix_f32 v58, v49, v2, v58 op_sel:[0,1,0] op_sel_hi:[1,1,0]
	v_fma_mix_f32 v0, v42, v2, v0 op_sel:[0,1,0] op_sel_hi:[1,1,0]
	;; [unrolled: 1-line block ×6, first 2 shown]
	v_fma_mix_f32 v58, v47, v3, v58 op_sel_hi:[1,1,0]
	v_fma_mix_f32 v0, v43, v3, v0 op_sel_hi:[1,1,0]
	v_fma_mix_f32 v1, v31, v7, v1 op_sel_hi:[1,1,0]
	v_fma_mix_f32 v2, v37, v7, v2 op_sel_hi:[1,1,0]
	v_fma_mix_f32 v5, v47, v7, v5 op_sel_hi:[1,1,0]
	v_fma_mix_f32 v4, v43, v7, v4 op_sel_hi:[1,1,0]
	v_fma_mix_f32 v58, v46, v3, v58 op_sel:[0,1,0] op_sel_hi:[1,1,0]
	v_fma_mix_f32 v0, v24, v3, v0 op_sel:[0,1,0] op_sel_hi:[1,1,0]
	;; [unrolled: 1-line block ×6, first 2 shown]
	v_fma_mixlo_f16 v58, v58, v11, 0 op_sel_hi:[0,1,0]
	v_fma_mixlo_f16 v0, v0, v11, 0 op_sel:[0,1,0] op_sel_hi:[0,1,0]
	v_fma_mixlo_f16 v1, v1, v10, 0 op_sel_hi:[0,1,0]
	v_fma_mixlo_f16 v2, v2, v10, 0 op_sel:[0,1,0] op_sel_hi:[0,1,0]
	;; [unrolled: 2-line block ×3, first 2 shown]
	v_add_f16_e32 v26, v26, v58
	v_add_f16_e32 v0, v19, v0
	;; [unrolled: 1-line block ×6, first 2 shown]
	v_pack_b32_f16 v21, v28, v30
	v_pack_b32_f16 v20, v26, v0
	v_pack_b32_f16 v19, v1, v2
	v_pack_b32_f16 v7, v3, v4
	s_cbranch_scc1 .LBB22_12
.LBB22_10:                              ; =>This Inner Loop Header: Depth=1
	s_cmp_lg_u32 s18, s8
	s_cbranch_scc1 .LBB22_9
; %bb.11:                               ;   in Loop: Header=BB22_10 Depth=1
	s_add_i32 s17, s17, 1
	s_add_i32 s8, s8, s16
	s_mul_i32 s1, s17, s0
	s_ashr_i32 s9, s1, 31
	v_add_nc_u32_e32 v2, s1, v8
	s_lshr_b32 s9, s9, 30
	s_add_i32 s9, s1, s9
	v_ashrrev_i32_e32 v3, 31, v2
	s_ashr_i32 s9, s9, 2
	v_add_nc_u32_e32 v0, s9, v14
	v_lshlrev_b64 v[2:3], 1, v[2:3]
	v_ashrrev_i32_e32 v1, 31, v0
	v_lshlrev_b64 v[0:1], 2, v[0:1]
	v_add_co_u32 v0, vcc_lo, s10, v0
	v_add_co_ci_u32_e64 v1, null, s11, v1, vcc_lo
	global_load_dword v4, v[0:1], off
	v_add_co_u32 v0, vcc_lo, s12, v2
	v_add_co_ci_u32_e64 v1, null, s13, v3, vcc_lo
	global_load_dwordx2 v[10:11], v[0:1], off
	s_waitcnt vmcnt(1)
	v_and_b32_e32 v15, 0xff, v4
	v_bfe_u32 v16, v4, 8, 8
	v_bfe_u32 v17, v4, 16, 8
	v_lshrrev_b32_e32 v18, 24, v4
	s_branch .LBB22_9
.LBB22_12:
	v_mad_u64_u32 v[0:1], null, s7, s0, v[8:9]
	s_mov_b32 s1, 0
	v_ashrrev_i32_e32 v1, 31, v0
	v_lshlrev_b64 v[1:2], 1, v[0:1]
	v_add_co_u32 v1, vcc_lo, s14, v1
	v_add_co_ci_u32_e64 v2, null, s15, v2, vcc_lo
	global_load_dword v4, v[1:2], off
.LBB22_13:                              ; =>This Inner Loop Header: Depth=1
	s_waitcnt vmcnt(0)
	v_pk_add_f16 v3, v21, v4
	global_atomic_cmpswap v3, v[1:2], v[3:4], off glc
	s_waitcnt vmcnt(0)
	v_cmp_eq_u32_e32 vcc_lo, v4, v3
	v_mov_b32_e32 v4, v3
	s_or_b32 s1, vcc_lo, s1
	s_andn2_b32 exec_lo, exec_lo, s1
	s_cbranch_execnz .LBB22_13
; %bb.14:
	s_or_b32 exec_lo, exec_lo, s1
	global_load_dword v4, v[1:2], off offset:4
	s_mov_b32 s1, 0
.LBB22_15:                              ; =>This Inner Loop Header: Depth=1
	s_waitcnt vmcnt(0)
	v_pk_add_f16 v3, v20, v4
	global_atomic_cmpswap v3, v[1:2], v[3:4], off offset:4 glc
	s_waitcnt vmcnt(0)
	v_cmp_eq_u32_e32 vcc_lo, v4, v3
	v_mov_b32_e32 v4, v3
	s_or_b32 s1, vcc_lo, s1
	s_andn2_b32 exec_lo, exec_lo, s1
	s_cbranch_execnz .LBB22_15
; %bb.16:
	s_or_b32 exec_lo, exec_lo, s1
	v_add_nc_u32_e32 v0, s0, v0
	s_mov_b32 s0, 0
	v_ashrrev_i32_e32 v1, 31, v0
	v_lshlrev_b64 v[0:1], 1, v[0:1]
	v_add_co_u32 v0, vcc_lo, s14, v0
	v_add_co_ci_u32_e64 v1, null, s15, v1, vcc_lo
	global_load_dword v3, v[0:1], off
.LBB22_17:                              ; =>This Inner Loop Header: Depth=1
	s_waitcnt vmcnt(0)
	v_pk_add_f16 v2, v19, v3
	global_atomic_cmpswap v2, v[0:1], v[2:3], off glc
	s_waitcnt vmcnt(0)
	v_cmp_eq_u32_e32 vcc_lo, v3, v2
	v_mov_b32_e32 v3, v2
	s_or_b32 s0, vcc_lo, s0
	s_andn2_b32 exec_lo, exec_lo, s0
	s_cbranch_execnz .LBB22_17
; %bb.18:
	s_or_b32 exec_lo, exec_lo, s0
	global_load_dword v3, v[0:1], off offset:4
	s_mov_b32 s0, 0
.LBB22_19:                              ; =>This Inner Loop Header: Depth=1
	s_waitcnt vmcnt(0)
	v_pk_add_f16 v2, v7, v3
	global_atomic_cmpswap v2, v[0:1], v[2:3], off offset:4 glc
	s_waitcnt vmcnt(0)
	v_cmp_eq_u32_e32 vcc_lo, v3, v2
	v_mov_b32_e32 v3, v2
	s_or_b32 s0, vcc_lo, s0
	s_andn2_b32 exec_lo, exec_lo, s0
	s_cbranch_execnz .LBB22_19
.LBB22_20:
	s_endpgm
	.section	.rodata,"a",@progbits
	.p2align	6, 0x0
	.amdhsa_kernel _ZN4vllm4gptq33gemm_half_q_half_gptq_8bit_kernelILb1ELi2EEEvPK6__halfPKjS6_S4_PS2_iiiibPKi
		.amdhsa_group_segment_fixed_size 512
		.amdhsa_private_segment_fixed_size 0
		.amdhsa_kernarg_size 72
		.amdhsa_user_sgpr_count 6
		.amdhsa_user_sgpr_private_segment_buffer 1
		.amdhsa_user_sgpr_dispatch_ptr 0
		.amdhsa_user_sgpr_queue_ptr 0
		.amdhsa_user_sgpr_kernarg_segment_ptr 1
		.amdhsa_user_sgpr_dispatch_id 0
		.amdhsa_user_sgpr_flat_scratch_init 0
		.amdhsa_user_sgpr_private_segment_size 0
		.amdhsa_wavefront_size32 1
		.amdhsa_uses_dynamic_stack 0
		.amdhsa_system_sgpr_private_segment_wavefront_offset 0
		.amdhsa_system_sgpr_workgroup_id_x 1
		.amdhsa_system_sgpr_workgroup_id_y 1
		.amdhsa_system_sgpr_workgroup_id_z 1
		.amdhsa_system_sgpr_workgroup_info 0
		.amdhsa_system_vgpr_workitem_id 0
		.amdhsa_next_free_vgpr 80
		.amdhsa_next_free_sgpr 24
		.amdhsa_reserve_vcc 1
		.amdhsa_reserve_flat_scratch 0
		.amdhsa_float_round_mode_32 0
		.amdhsa_float_round_mode_16_64 0
		.amdhsa_float_denorm_mode_32 3
		.amdhsa_float_denorm_mode_16_64 3
		.amdhsa_dx10_clamp 1
		.amdhsa_ieee_mode 1
		.amdhsa_fp16_overflow 0
		.amdhsa_workgroup_processor_mode 1
		.amdhsa_memory_ordered 1
		.amdhsa_forward_progress 1
		.amdhsa_shared_vgpr_count 0
		.amdhsa_exception_fp_ieee_invalid_op 0
		.amdhsa_exception_fp_denorm_src 0
		.amdhsa_exception_fp_ieee_div_zero 0
		.amdhsa_exception_fp_ieee_overflow 0
		.amdhsa_exception_fp_ieee_underflow 0
		.amdhsa_exception_fp_ieee_inexact 0
		.amdhsa_exception_int_div_zero 0
	.end_amdhsa_kernel
	.section	.text._ZN4vllm4gptq33gemm_half_q_half_gptq_8bit_kernelILb1ELi2EEEvPK6__halfPKjS6_S4_PS2_iiiibPKi,"axG",@progbits,_ZN4vllm4gptq33gemm_half_q_half_gptq_8bit_kernelILb1ELi2EEEvPK6__halfPKjS6_S4_PS2_iiiibPKi,comdat
.Lfunc_end22:
	.size	_ZN4vllm4gptq33gemm_half_q_half_gptq_8bit_kernelILb1ELi2EEEvPK6__halfPKjS6_S4_PS2_iiiibPKi, .Lfunc_end22-_ZN4vllm4gptq33gemm_half_q_half_gptq_8bit_kernelILb1ELi2EEEvPK6__halfPKjS6_S4_PS2_iiiibPKi
                                        ; -- End function
	.set _ZN4vllm4gptq33gemm_half_q_half_gptq_8bit_kernelILb1ELi2EEEvPK6__halfPKjS6_S4_PS2_iiiibPKi.num_vgpr, 80
	.set _ZN4vllm4gptq33gemm_half_q_half_gptq_8bit_kernelILb1ELi2EEEvPK6__halfPKjS6_S4_PS2_iiiibPKi.num_agpr, 0
	.set _ZN4vllm4gptq33gemm_half_q_half_gptq_8bit_kernelILb1ELi2EEEvPK6__halfPKjS6_S4_PS2_iiiibPKi.numbered_sgpr, 24
	.set _ZN4vllm4gptq33gemm_half_q_half_gptq_8bit_kernelILb1ELi2EEEvPK6__halfPKjS6_S4_PS2_iiiibPKi.num_named_barrier, 0
	.set _ZN4vllm4gptq33gemm_half_q_half_gptq_8bit_kernelILb1ELi2EEEvPK6__halfPKjS6_S4_PS2_iiiibPKi.private_seg_size, 0
	.set _ZN4vllm4gptq33gemm_half_q_half_gptq_8bit_kernelILb1ELi2EEEvPK6__halfPKjS6_S4_PS2_iiiibPKi.uses_vcc, 1
	.set _ZN4vllm4gptq33gemm_half_q_half_gptq_8bit_kernelILb1ELi2EEEvPK6__halfPKjS6_S4_PS2_iiiibPKi.uses_flat_scratch, 0
	.set _ZN4vllm4gptq33gemm_half_q_half_gptq_8bit_kernelILb1ELi2EEEvPK6__halfPKjS6_S4_PS2_iiiibPKi.has_dyn_sized_stack, 0
	.set _ZN4vllm4gptq33gemm_half_q_half_gptq_8bit_kernelILb1ELi2EEEvPK6__halfPKjS6_S4_PS2_iiiibPKi.has_recursion, 0
	.set _ZN4vllm4gptq33gemm_half_q_half_gptq_8bit_kernelILb1ELi2EEEvPK6__halfPKjS6_S4_PS2_iiiibPKi.has_indirect_call, 0
	.section	.AMDGPU.csdata,"",@progbits
; Kernel info:
; codeLenInByte = 6180
; TotalNumSgprs: 26
; NumVgprs: 80
; ScratchSize: 0
; MemoryBound: 0
; FloatMode: 240
; IeeeMode: 1
; LDSByteSize: 512 bytes/workgroup (compile time only)
; SGPRBlocks: 0
; VGPRBlocks: 9
; NumSGPRsForWavesPerEU: 26
; NumVGPRsForWavesPerEU: 80
; Occupancy: 12
; WaveLimiterHint : 0
; COMPUTE_PGM_RSRC2:SCRATCH_EN: 0
; COMPUTE_PGM_RSRC2:USER_SGPR: 6
; COMPUTE_PGM_RSRC2:TRAP_HANDLER: 0
; COMPUTE_PGM_RSRC2:TGID_X_EN: 1
; COMPUTE_PGM_RSRC2:TGID_Y_EN: 1
; COMPUTE_PGM_RSRC2:TGID_Z_EN: 1
; COMPUTE_PGM_RSRC2:TIDIG_COMP_CNT: 0
	.section	.text._ZN4vllm4gptq33gemm_half_q_half_gptq_2bit_kernelILb1ELi3EEEvPK6__halfPKjS6_S4_PS2_iiiibPKi,"axG",@progbits,_ZN4vllm4gptq33gemm_half_q_half_gptq_2bit_kernelILb1ELi3EEEvPK6__halfPKjS6_S4_PS2_iiiibPKi,comdat
	.protected	_ZN4vllm4gptq33gemm_half_q_half_gptq_2bit_kernelILb1ELi3EEEvPK6__halfPKjS6_S4_PS2_iiiibPKi ; -- Begin function _ZN4vllm4gptq33gemm_half_q_half_gptq_2bit_kernelILb1ELi3EEEvPK6__halfPKjS6_S4_PS2_iiiibPKi
	.globl	_ZN4vllm4gptq33gemm_half_q_half_gptq_2bit_kernelILb1ELi3EEEvPK6__halfPKjS6_S4_PS2_iiiibPKi
	.p2align	8
	.type	_ZN4vllm4gptq33gemm_half_q_half_gptq_2bit_kernelILb1ELi3EEEvPK6__halfPKjS6_S4_PS2_iiiibPKi,@function
_ZN4vllm4gptq33gemm_half_q_half_gptq_2bit_kernelILb1ELi3EEEvPK6__halfPKjS6_S4_PS2_iiiibPKi: ; @_ZN4vllm4gptq33gemm_half_q_half_gptq_2bit_kernelILb1ELi3EEEvPK6__halfPKjS6_S4_PS2_iiiibPKi
; %bb.0:
	s_load_dwordx4 s[0:3], s[4:5], 0x2c
	s_lshl_b32 s18, s8, 7
	s_mul_i32 s7, s7, 3
	s_add_i32 s8, s18, 0x80
	s_mov_b32 s20, exec_lo
	v_cvt_f64_u32_e32 v[1:2], s8
	s_load_dwordx8 s[8:15], s[4:5], 0x8
	s_waitcnt lgkmcnt(0)
	v_cvt_f64_i32_e32 v[3:4], s1
	v_min_f64 v[1:2], v[1:2], v[3:4]
	v_cvt_i32_f64_e32 v2, v[1:2]
	v_add_nc_u32_e32 v1, s18, v0
	v_readfirstlane_b32 s19, v2
	v_cmpx_lt_u32_e64 v1, v2
	s_cbranch_execz .LBB23_8
; %bb.1:
	s_clause 0x1
	s_load_dwordx2 s[16:17], s[4:5], 0x40
	s_load_dwordx2 s[4:5], s[4:5], 0x0
	v_mov_b32_e32 v2, 0
	v_lshlrev_b64 v[3:4], 2, v[1:2]
	v_mov_b32_e32 v6, v2
	v_mov_b32_e32 v5, v1
	s_waitcnt lgkmcnt(0)
	v_add_co_u32 v3, vcc_lo, s16, v3
	v_add_co_ci_u32_e64 v4, null, s17, v4, vcc_lo
	s_cmp_lg_u64 s[16:17], 0
	s_cselect_b32 s21, -1, 0
	s_cmp_eq_u64 s[16:17], 0
	s_cbranch_scc1 .LBB23_3
; %bb.2:
	global_load_dword v5, v[3:4], off
	s_waitcnt vmcnt(0)
	v_ashrrev_i32_e32 v6, 31, v5
.LBB23_3:
	s_mul_i32 s16, s7, s1
	v_lshlrev_b64 v[5:6], 1, v[5:6]
	s_ashr_i32 s17, s16, 31
	v_cndmask_b32_e64 v8, 0, 1, s21
	s_lshl_b64 s[22:23], s[16:17], 1
	v_lshlrev_b32_e32 v7, 1, v0
	s_add_u32 s17, s4, s22
	s_addc_u32 s22, s5, s23
	v_add_co_u32 v5, vcc_lo, s17, v5
	v_add_co_ci_u32_e64 v6, null, s22, v6, vcc_lo
	s_andn2_b32 vcc_lo, exec_lo, s21
	global_load_ushort v9, v[5:6], off
	v_mov_b32_e32 v6, v2
	v_mov_b32_e32 v5, v1
	s_waitcnt vmcnt(0)
	ds_write_b16 v7, v9
	s_cbranch_vccnz .LBB23_5
; %bb.4:
	global_load_dword v5, v[3:4], off
	s_waitcnt vmcnt(0)
	v_ashrrev_i32_e32 v6, 31, v5
.LBB23_5:
	s_add_i32 s16, s16, s1
	v_lshlrev_b64 v[5:6], 1, v[5:6]
	s_ashr_i32 s17, s16, 31
	s_lshl_b64 s[22:23], s[16:17], 1
	s_add_u32 s17, s4, s22
	s_addc_u32 s21, s5, s23
	v_add_co_u32 v5, vcc_lo, s17, v5
	v_add_co_ci_u32_e64 v6, null, s21, v6, vcc_lo
	v_cmp_ne_u32_e32 vcc_lo, 1, v8
	global_load_ushort v5, v[5:6], off
	s_waitcnt vmcnt(0)
	ds_write_b16 v7, v5 offset:256
	s_cbranch_vccnz .LBB23_7
; %bb.6:
	global_load_dword v1, v[3:4], off
	s_waitcnt vmcnt(0)
	v_ashrrev_i32_e32 v2, 31, v1
.LBB23_7:
	s_add_i32 s16, s16, s1
	v_lshlrev_b64 v[1:2], 1, v[1:2]
	s_ashr_i32 s17, s16, 31
	s_lshl_b64 s[16:17], s[16:17], 1
	s_add_u32 s4, s4, s16
	s_addc_u32 s5, s5, s17
	v_add_co_u32 v1, vcc_lo, s4, v1
	v_add_co_ci_u32_e64 v2, null, s5, v2, vcc_lo
	global_load_ushort v1, v[1:2], off
	s_waitcnt vmcnt(0)
	ds_write_b16 v7, v1 offset:512
.LBB23_8:
	s_or_b32 exec_lo, exec_lo, s20
	v_lshlrev_b32_e32 v1, 2, v0
	s_mov_b32 s4, exec_lo
	v_lshl_add_u32 v1, s6, 9, v1
	v_cmpx_gt_i32_e64 s0, v1
	s_cbranch_execz .LBB23_26
; %bb.9:
	s_abs_i32 s5, s2
	v_mov_b32_e32 v19, 0
	v_cvt_f32_u32_e32 v2, s5
	v_mov_b32_e32 v17, 0
	v_mov_b32_e32 v16, 0
	;; [unrolled: 1-line block ×4, first 2 shown]
	v_rcp_iflag_f32_e32 v2, v2
	v_mov_b32_e32 v13, 0
	s_cmp_ge_i32 s18, s19
	s_mov_b32 s4, 0
	s_waitcnt lgkmcnt(0)
	s_barrier
	buffer_gl0_inv
	v_mul_f32_e32 v2, 0x4f7ffffe, v2
	v_cvt_u32_f32_e32 v2, v2
	v_readfirstlane_b32 s6, v2
	s_cbranch_scc1 .LBB23_14
; %bb.10:
	s_sub_i32 s16, 0, s5
	s_abs_i32 s17, s1
	s_mul_i32 s16, s16, s6
	s_ashr_i32 s1, s1, 31
	s_mul_hi_u32 s16, s6, s16
	s_ashr_i32 s2, s2, 31
	s_add_i32 s6, s6, s16
	s_xor_b32 s1, s1, s2
	s_mul_hi_u32 s6, s17, s6
	v_lshlrev_b32_e32 v8, 3, v0
	s_mul_i32 s16, s6, s5
	v_mov_b32_e32 v13, 0
	s_sub_i32 s2, s17, s16
	s_add_i32 s16, s6, 1
	s_sub_i32 s17, s2, s5
	s_cmp_ge_u32 s2, s5
	v_and_b32_e32 v20, 24, v8
	s_cselect_b32 s6, s16, s6
	s_cselect_b32 s2, s17, s2
	s_add_i32 s16, s6, 1
	s_cmp_ge_u32 s2, s5
	v_mov_b32_e32 v0, 0x10001
	s_cselect_b32 s2, s16, s6
	v_mov_b32_e32 v14, 0
	s_xor_b32 s2, s2, s1
	v_mov_b32_e32 v15, 0
	s_sub_i32 s5, s2, s1
	s_bitcmp1_b32 s3, 0
	v_cvt_f32_u32_e32 v2, s5
	s_cselect_b32 s2, -1, 0
	s_sub_i32 s3, 0, s5
	s_xor_b32 s20, s2, -1
	v_mov_b32_e32 v16, 0
	v_rcp_iflag_f32_e32 v2, v2
	v_mov_b32_e32 v17, 0
	v_mov_b32_e32 v19, 0
	s_mov_b32 s16, 0x10001
	s_mov_b32 s17, 0x30003
	v_mul_f32_e32 v2, 0x4f7ffffe, v2
	v_cvt_u32_f32_e32 v2, v2
	v_readfirstlane_b32 s1, v2
	v_ashrrev_i32_e32 v2, 31, v1
	s_mul_i32 s3, s3, s1
	v_lshrrev_b32_e32 v3, 28, v2
	s_mul_hi_u32 s3, s1, s3
	s_add_i32 s1, s1, s3
	v_add_nc_u32_e32 v3, v1, v3
	s_mul_hi_u32 s1, s18, s1
	s_mul_i32 s3, s1, s5
	s_sub_i32 s2, s18, s3
	s_add_i32 s3, s1, 1
	s_sub_i32 s6, s2, s5
	s_cmp_ge_u32 s2, s5
	v_ashrrev_i32_e32 v18, 4, v3
	s_cselect_b32 s1, s3, s1
	s_cselect_b32 s2, s6, s2
	s_add_i32 s3, s1, 1
	s_cmp_ge_u32 s2, s5
	s_cselect_b32 s6, s3, s1
	s_mul_i32 s1, s6, s0
	s_ashr_i32 s2, s1, 31
	v_add_nc_u32_e32 v5, s1, v1
	s_lshr_b32 s2, s2, 28
	s_add_i32 s2, s1, s2
	s_lshr_b32 s1, s18, 4
	s_ashr_i32 s2, s2, 4
	v_ashrrev_i32_e32 v6, 31, v5
	v_add_nc_u32_e32 v3, s2, v18
	s_mul_i32 s2, s0, s1
	s_ashr_i32 s1, s0, 31
	s_ashr_i32 s3, s2, 31
	v_ashrrev_i32_e32 v4, 31, v3
	s_lshl_b64 s[2:3], s[2:3], 2
	v_lshlrev_b64 v[3:4], 2, v[3:4]
	v_add_co_u32 v3, vcc_lo, s10, v3
	v_add_co_ci_u32_e64 v4, null, s11, v4, vcc_lo
	global_load_dword v7, v[3:4], off
	v_lshlrev_b64 v[3:4], 1, v[5:6]
	v_lshlrev_b64 v[5:6], 2, v[1:2]
	v_cndmask_b32_e64 v2, 0, 1, s20
	s_add_i32 s20, s5, s18
	s_add_u32 s8, s8, s2
	s_addc_u32 s9, s9, s3
	v_add_co_u32 v3, vcc_lo, s12, v3
	v_add_co_ci_u32_e64 v4, null, s13, v4, vcc_lo
	v_add_co_u32 v5, vcc_lo, s8, v5
	v_add_co_ci_u32_e64 v6, null, s9, v6, vcc_lo
	global_load_dwordx2 v[3:4], v[3:4], off
	v_add_co_u32 v5, vcc_lo, v5, 8
	v_add_co_ci_u32_e64 v6, null, 0, v6, vcc_lo
	s_lshl_b64 s[2:3], s[0:1], 2
	s_mov_b32 s1, 0xc000c
	s_mov_b32 s8, 0x300030
	;; [unrolled: 1-line block ×3, first 2 shown]
	s_waitcnt vmcnt(1)
	v_lshrrev_b32_e32 v8, v8, v7
	v_bfe_u32 v21, v7, v20, 2
	v_bfe_u32 v22, v8, 2, 2
	v_bfe_u32 v23, v8, 4, 2
	v_bfe_u32 v24, v8, 6, 2
	s_branch .LBB23_12
.LBB23_11:                              ;   in Loop: Header=BB23_12 Depth=1
	global_load_dwordx4 v[26:29], v[5:6], off offset:-8
	v_add_nc_u32_e32 v7, v21, v2
	v_add_nc_u32_e32 v8, v22, v2
	;; [unrolled: 1-line block ×3, first 2 shown]
	v_mov_b32_e32 v25, s4
	v_add_nc_u32_e32 v10, v24, v2
	v_cvt_f32_i32_e32 v11, v7
	v_cvt_f32_i32_e32 v12, v8
	v_and_b32_e32 v8, 0x1bff, v8
	v_cvt_f32_i32_e32 v30, v9
	ds_read2_b32 v[36:37], v25 offset1:1
	v_and_b32_e32 v7, 0x1bff, v7
	v_cvt_f32_i32_e32 v31, v10
	v_and_b32_e32 v33, 0x1bff, v10
	v_cvt_f16_f32_e32 v38, v11
	v_mad_u32_u24 v10, v8, s16, 0xe400e400
	v_cvt_f16_f32_e32 v8, v30
	v_and_b32_e32 v9, 0x1bff, v9
	v_mad_u32_u24 v7, v7, s16, 0xe400e400
	v_cvt_f16_f32_e32 v40, v31
	v_sub_f16_e32 v31, 0xdc00, v38
	v_sub_f16_e32 v41, 0xdc00, v8
	v_cvt_f16_f32_e32 v39, v12
	v_mad_u32_u24 v9, v9, s16, 0xe400e400
	v_sub_f16_e32 v55, 0xdc00, v40
	v_mad_u32_u24 v30, v33, s16, 0xe400e400
	v_mul_u32_u24_sdwa v35, v31, v0 dst_sel:DWORD dst_unused:UNUSED_PAD src0_sel:WORD_0 src1_sel:DWORD
	v_mul_u32_u24_sdwa v33, v41, v0 dst_sel:DWORD dst_unused:UNUSED_PAD src0_sel:WORD_0 src1_sel:DWORD
	v_sub_f16_e32 v34, 0xdc00, v39
	v_mul_u32_u24_sdwa v31, v55, v0 dst_sel:DWORD dst_unused:UNUSED_PAD src0_sel:WORD_0 src1_sel:DWORD
	v_sub_f16_e32 v65, 0xcc00, v40
	v_add_co_u32 v5, vcc_lo, v5, s2
	v_mul_u32_u24_sdwa v34, v34, v0 dst_sel:DWORD dst_unused:UNUSED_PAD src0_sel:WORD_0 src1_sel:DWORD
	v_add_co_ci_u32_e64 v6, null, s3, v6, vcc_lo
	s_add_i32 s18, s18, 16
	s_add_i32 s4, s4, 32
	s_cmp_ge_i32 s18, s19
	s_waitcnt vmcnt(0)
	v_and_or_b32 v42, v26, s17, 0x64006400
	v_and_or_b32 v43, v26, s1, 0x64006400
	;; [unrolled: 1-line block ×4, first 2 shown]
	v_lshrrev_b32_e32 v32, 8, v26
	v_and_or_b32 v26, v27, s17, 0x64006400
	v_and_or_b32 v44, v27, s1, 0x64006400
	v_and_or_b32 v47, v27, s8, 0x64006400
	v_and_or_b32 v48, v27, s9, 0x64006400
	v_lshrrev_b32_e32 v12, 8, v27
	v_and_or_b32 v27, v28, s17, 0x64006400
	v_pk_add_f16 v41, v7, v42
	v_and_or_b32 v49, v28, s1, 0x64006400
	v_and_or_b32 v50, v28, s8, 0x64006400
	;; [unrolled: 1-line block ×3, first 2 shown]
	v_lshrrev_b32_e32 v11, 8, v28
	v_and_or_b32 v28, v29, s17, 0x64006400
	v_pk_add_f16 v42, v10, v26
	v_pk_fma_f16 v43, 0x3400, v43, v35 op_sel_hi:[0,1,1]
	v_pk_add_f16 v55, v9, v27
	s_waitcnt lgkmcnt(0)
	v_pk_fma_f16 v26, v41, v36, 0
	v_and_or_b32 v52, v29, s1, 0x64006400
	v_pk_fma_f16 v49, 0x3400, v49, v33 op_sel_hi:[0,1,1]
	v_pk_add_f16 v28, v30, v28
	v_pk_fma_f16 v44, 0x3400, v44, v34 op_sel_hi:[0,1,1]
	v_pk_fma_f16 v56, v43, v37, v26
	v_pk_fma_f16 v26, v55, v36, 0
	;; [unrolled: 1-line block ×3, first 2 shown]
	v_pk_fma_f16 v52, 0x3400, v52, v31 op_sel_hi:[0,1,1]
	v_and_or_b32 v53, v29, s8, 0x64006400
	v_and_or_b32 v54, v29, s9, 0x64006400
	v_pk_fma_f16 v58, v49, v37, v26
	v_pk_fma_f16 v26, v28, v36, 0
	;; [unrolled: 1-line block ×3, first 2 shown]
	v_lshrrev_b32_e32 v29, 8, v29
	v_pk_fma_f16 v59, v52, v37, v26
	ds_read2_b32 v[26:27], v25 offset0:64 offset1:65
	v_sub_f16_e32 v37, 0xd400, v8
	v_sub_f16_e32 v8, 0xcc00, v8
	s_waitcnt lgkmcnt(0)
	v_pk_fma_f16 v36, v41, v26, 0
	v_pk_fma_f16 v60, v43, v27, v36
	;; [unrolled: 1-line block ×8, first 2 shown]
	ds_read2_b32 v[26:27], v25 offset0:128 offset1:129
	s_waitcnt lgkmcnt(0)
	v_pk_fma_f16 v36, v41, v26, 0
	v_pk_fma_f16 v64, v43, v27, v36
	;; [unrolled: 1-line block ×6, first 2 shown]
	v_sub_f16_e32 v28, 0xd400, v39
	v_sub_f16_e32 v55, 0xd400, v40
	v_pk_fma_f16 v49, v49, v27, v36
	v_pk_fma_f16 v52, v52, v27, v26
	v_sub_f16_e32 v26, 0xd400, v38
	v_sub_f16_e32 v27, 0xcc00, v38
	;; [unrolled: 1-line block ×3, first 2 shown]
	v_mul_u32_u24_sdwa v41, v28, v0 dst_sel:DWORD dst_unused:UNUSED_PAD src0_sel:WORD_0 src1_sel:DWORD
	v_mul_u32_u24_sdwa v38, v37, v0 dst_sel:DWORD dst_unused:UNUSED_PAD src0_sel:WORD_0 src1_sel:DWORD
	;; [unrolled: 1-line block ×4, first 2 shown]
	ds_read2_b32 v[26:27], v25 offset0:2 offset1:3
	v_mul_u32_u24_sdwa v40, v36, v0 dst_sel:DWORD dst_unused:UNUSED_PAD src0_sel:WORD_0 src1_sel:DWORD
	v_mul_u32_u24_sdwa v36, v55, v0 dst_sel:DWORD dst_unused:UNUSED_PAD src0_sel:WORD_0 src1_sel:DWORD
	;; [unrolled: 1-line block ×4, first 2 shown]
	v_pk_fma_f16 v8, 0x2c00, v45, v44 op_sel_hi:[0,1,1]
	v_pk_fma_f16 v65, 0x2c00, v47, v41 op_sel_hi:[0,1,1]
	;; [unrolled: 1-line block ×8, first 2 shown]
	s_waitcnt lgkmcnt(0)
	v_pk_fma_f16 v28, v8, v26, v56
	v_pk_fma_f16 v45, v65, v26, v57
	;; [unrolled: 1-line block ×8, first 2 shown]
	ds_read2_b32 v[27:28], v25 offset0:66 offset1:67
	s_waitcnt lgkmcnt(0)
	v_pk_fma_f16 v46, v8, v27, v60
	v_pk_fma_f16 v47, v65, v27, v61
	;; [unrolled: 1-line block ×7, first 2 shown]
	ds_read2_b32 v[47:48], v25 offset0:130 offset1:131
	v_pk_fma_f16 v27, v54, v28, v27
	s_waitcnt lgkmcnt(0)
	v_pk_fma_f16 v8, v8, v47, v64
	v_pk_fma_f16 v28, v65, v47, v42
	;; [unrolled: 1-line block ×4, first 2 shown]
	v_and_or_b32 v53, v11, s9, 0x64006400
	v_pk_fma_f16 v50, v55, v48, v8
	v_pk_fma_f16 v52, v66, v48, v28
	;; [unrolled: 1-line block ×4, first 2 shown]
	v_and_or_b32 v42, v32, s1, 0x64006400
	v_and_or_b32 v48, v32, s8, 0x64006400
	;; [unrolled: 1-line block ×5, first 2 shown]
	v_pk_fma_f16 v42, 0x3400, v42, v35 op_sel_hi:[0,1,1]
	v_pk_fma_f16 v35, 0x2c00, v48, v44 op_sel_hi:[0,1,1]
	v_and_or_b32 v44, v12, s1, 0x64006400
	v_and_or_b32 v48, v12, s8, 0x64006400
	;; [unrolled: 1-line block ×3, first 2 shown]
	v_pk_add_f16 v51, v10, v51
	v_and_or_b32 v10, v11, s17, 0x64006400
	v_pk_add_f16 v49, v7, v8
	ds_read2_b32 v[7:8], v25 offset0:4 offset1:5
	v_pk_fma_f16 v32, 0x2400, v32, v43 op_sel_hi:[0,1,1]
	v_pk_fma_f16 v43, 0x3400, v44, v34 op_sel_hi:[0,1,1]
	v_and_or_b32 v44, v11, s1, 0x64006400
	v_pk_fma_f16 v41, 0x2c00, v48, v41 op_sel_hi:[0,1,1]
	v_and_or_b32 v48, v11, s8, 0x64006400
	v_pk_fma_f16 v34, 0x2400, v12, v40 op_sel_hi:[0,1,1]
	v_pk_add_f16 v55, v9, v10
	ds_read2_b32 v[11:12], v25 offset0:68 offset1:69
	ds_read2_b32 v[9:10], v25 offset0:132 offset1:133
	v_and_or_b32 v54, v29, s17, 0x64006400
	v_pk_fma_f16 v40, 0x3400, v44, v33 op_sel_hi:[0,1,1]
	v_pk_fma_f16 v33, 0x2400, v53, v39 op_sel_hi:[0,1,1]
	;; [unrolled: 1-line block ×3, first 2 shown]
	v_pk_add_f16 v39, v30, v54
	v_and_or_b32 v30, v29, s1, 0x64006400
	v_pk_fma_f16 v31, 0x3400, v30, v31 op_sel_hi:[0,1,1]
	v_and_or_b32 v30, v29, s8, 0x64006400
	v_and_or_b32 v29, v29, s9, 0x64006400
	v_pk_fma_f16 v30, 0x2c00, v30, v36 op_sel_hi:[0,1,1]
	v_pk_fma_f16 v29, 0x2400, v29, v37 op_sel_hi:[0,1,1]
	ds_read2_b32 v[36:37], v25 offset0:6 offset1:7
	s_waitcnt lgkmcnt(3)
	v_pk_fma_f16 v53, v49, v7, v56
	v_pk_fma_f16 v54, v51, v7, v57
	s_waitcnt lgkmcnt(2)
	v_pk_fma_f16 v56, v49, v11, v58
	v_pk_fma_f16 v57, v51, v11, v59
	;; [unrolled: 3-line block ×3, first 2 shown]
	ds_read2_b32 v[48:49], v25 offset0:70 offset1:71
	v_pk_fma_f16 v52, v55, v7, v45
	ds_read2_b32 v[44:45], v25 offset0:134 offset1:135
	v_pk_fma_f16 v46, v55, v11, v46
	v_pk_fma_f16 v47, v55, v9, v47
	;; [unrolled: 1-line block ×17, first 2 shown]
	s_waitcnt lgkmcnt(2)
	v_pk_fma_f16 v10, v35, v36, v25
	v_pk_fma_f16 v25, v41, v36, v26
	v_pk_fma_f16 v26, v38, v36, v27
	v_pk_fma_f16 v7, v30, v36, v7
	s_waitcnt lgkmcnt(1)
	v_pk_fma_f16 v8, v35, v48, v8
	v_pk_fma_f16 v27, v41, v48, v28
	v_pk_fma_f16 v28, v38, v48, v39
	v_pk_fma_f16 v11, v30, v48, v11
	;; [unrolled: 5-line block ×3, first 2 shown]
	v_pk_fma_f16 v10, v32, v37, v10
	v_pk_fma_f16 v25, v34, v37, v25
	;; [unrolled: 1-line block ×12, first 2 shown]
	v_pack_b32_f16 v29, v10, v25
	v_perm_b32 v10, v25, v10, 0x7060302
	v_pack_b32_f16 v25, v8, v27
	v_perm_b32 v8, v27, v8, 0x7060302
	;; [unrolled: 2-line block ×6, first 2 shown]
	v_pk_add_f16 v10, v29, v10
	v_pk_add_f16 v8, v25, v8
	;; [unrolled: 1-line block ×6, first 2 shown]
	v_pk_fma_f16 v19, v10, v3, v19
	v_pk_fma_f16 v16, v8, v3, v16
	v_pk_fma_f16 v14, v12, v3, v14
	v_pk_fma_f16 v17, v7, v4, v17
	v_pk_fma_f16 v15, v11, v4, v15
	v_pk_fma_f16 v13, v9, v4, v13
	s_cbranch_scc1 .LBB23_14
.LBB23_12:                              ; =>This Inner Loop Header: Depth=1
	s_cmp_lg_u32 s18, s20
	s_cbranch_scc1 .LBB23_11
; %bb.13:                               ;   in Loop: Header=BB23_12 Depth=1
	s_add_i32 s6, s6, 1
	s_add_i32 s20, s20, s5
	s_mul_i32 s21, s6, s0
	s_ashr_i32 s22, s21, 31
	v_add_nc_u32_e32 v7, s21, v1
	s_lshr_b32 s22, s22, 28
	s_add_i32 s22, s21, s22
	v_ashrrev_i32_e32 v8, 31, v7
	s_ashr_i32 s22, s22, 4
	s_waitcnt vmcnt(0)
	v_add_nc_u32_e32 v3, s22, v18
	v_lshlrev_b64 v[7:8], 1, v[7:8]
	v_ashrrev_i32_e32 v4, 31, v3
	v_lshlrev_b64 v[3:4], 2, v[3:4]
	v_add_co_u32 v3, vcc_lo, s10, v3
	v_add_co_ci_u32_e64 v4, null, s11, v4, vcc_lo
	global_load_dword v9, v[3:4], off
	v_add_co_u32 v3, vcc_lo, s12, v7
	v_add_co_ci_u32_e64 v4, null, s13, v8, vcc_lo
	global_load_dwordx2 v[3:4], v[3:4], off
	s_waitcnt vmcnt(1)
	v_lshrrev_b32_e32 v7, v20, v9
	v_bfe_u32 v21, v9, v20, 2
	v_bfe_u32 v22, v7, 2, 2
	;; [unrolled: 1-line block ×4, first 2 shown]
	s_branch .LBB23_11
.LBB23_14:
	v_mad_u64_u32 v[0:1], null, s7, s0, v[1:2]
	s_mov_b32 s1, 0
	v_ashrrev_i32_e32 v1, 31, v0
	v_lshlrev_b64 v[1:2], 1, v[0:1]
	v_add_co_u32 v1, vcc_lo, s14, v1
	v_add_co_ci_u32_e64 v2, null, s15, v2, vcc_lo
	global_load_dword v4, v[1:2], off
.LBB23_15:                              ; =>This Inner Loop Header: Depth=1
	s_waitcnt vmcnt(0)
	v_pk_add_f16 v3, v19, v4
	global_atomic_cmpswap v3, v[1:2], v[3:4], off glc
	s_waitcnt vmcnt(0)
	v_cmp_eq_u32_e32 vcc_lo, v4, v3
	v_mov_b32_e32 v4, v3
	s_or_b32 s1, vcc_lo, s1
	s_andn2_b32 exec_lo, exec_lo, s1
	s_cbranch_execnz .LBB23_15
; %bb.16:
	s_or_b32 exec_lo, exec_lo, s1
	global_load_dword v4, v[1:2], off offset:4
	s_mov_b32 s1, 0
.LBB23_17:                              ; =>This Inner Loop Header: Depth=1
	s_waitcnt vmcnt(0)
	v_pk_add_f16 v3, v17, v4
	global_atomic_cmpswap v3, v[1:2], v[3:4], off offset:4 glc
	s_waitcnt vmcnt(0)
	v_cmp_eq_u32_e32 vcc_lo, v4, v3
	v_mov_b32_e32 v4, v3
	s_or_b32 s1, vcc_lo, s1
	s_andn2_b32 exec_lo, exec_lo, s1
	s_cbranch_execnz .LBB23_17
; %bb.18:
	s_or_b32 exec_lo, exec_lo, s1
	v_add_nc_u32_e32 v0, s0, v0
	s_mov_b32 s1, 0
	v_ashrrev_i32_e32 v1, 31, v0
	v_lshlrev_b64 v[1:2], 1, v[0:1]
	v_add_co_u32 v1, vcc_lo, s14, v1
	v_add_co_ci_u32_e64 v2, null, s15, v2, vcc_lo
	global_load_dword v4, v[1:2], off
.LBB23_19:                              ; =>This Inner Loop Header: Depth=1
	s_waitcnt vmcnt(0)
	v_pk_add_f16 v3, v16, v4
	global_atomic_cmpswap v3, v[1:2], v[3:4], off glc
	s_waitcnt vmcnt(0)
	v_cmp_eq_u32_e32 vcc_lo, v4, v3
	v_mov_b32_e32 v4, v3
	s_or_b32 s1, vcc_lo, s1
	s_andn2_b32 exec_lo, exec_lo, s1
	s_cbranch_execnz .LBB23_19
; %bb.20:
	s_or_b32 exec_lo, exec_lo, s1
	global_load_dword v4, v[1:2], off offset:4
	s_mov_b32 s1, 0
.LBB23_21:                              ; =>This Inner Loop Header: Depth=1
	s_waitcnt vmcnt(0)
	v_pk_add_f16 v3, v15, v4
	global_atomic_cmpswap v3, v[1:2], v[3:4], off offset:4 glc
	s_waitcnt vmcnt(0)
	v_cmp_eq_u32_e32 vcc_lo, v4, v3
	v_mov_b32_e32 v4, v3
	s_or_b32 s1, vcc_lo, s1
	s_andn2_b32 exec_lo, exec_lo, s1
	s_cbranch_execnz .LBB23_21
; %bb.22:
	s_or_b32 exec_lo, exec_lo, s1
	v_add_nc_u32_e32 v0, s0, v0
	s_mov_b32 s0, 0
	v_ashrrev_i32_e32 v1, 31, v0
	v_lshlrev_b64 v[0:1], 1, v[0:1]
	v_add_co_u32 v0, vcc_lo, s14, v0
	v_add_co_ci_u32_e64 v1, null, s15, v1, vcc_lo
	global_load_dword v3, v[0:1], off
.LBB23_23:                              ; =>This Inner Loop Header: Depth=1
	s_waitcnt vmcnt(0)
	v_pk_add_f16 v2, v14, v3
	global_atomic_cmpswap v2, v[0:1], v[2:3], off glc
	s_waitcnt vmcnt(0)
	v_cmp_eq_u32_e32 vcc_lo, v3, v2
	v_mov_b32_e32 v3, v2
	s_or_b32 s0, vcc_lo, s0
	s_andn2_b32 exec_lo, exec_lo, s0
	s_cbranch_execnz .LBB23_23
; %bb.24:
	s_or_b32 exec_lo, exec_lo, s0
	global_load_dword v3, v[0:1], off offset:4
	s_mov_b32 s0, 0
.LBB23_25:                              ; =>This Inner Loop Header: Depth=1
	s_waitcnt vmcnt(0)
	v_pk_add_f16 v2, v13, v3
	global_atomic_cmpswap v2, v[0:1], v[2:3], off offset:4 glc
	s_waitcnt vmcnt(0)
	v_cmp_eq_u32_e32 vcc_lo, v3, v2
	v_mov_b32_e32 v3, v2
	s_or_b32 s0, vcc_lo, s0
	s_andn2_b32 exec_lo, exec_lo, s0
	s_cbranch_execnz .LBB23_25
.LBB23_26:
	s_endpgm
	.section	.rodata,"a",@progbits
	.p2align	6, 0x0
	.amdhsa_kernel _ZN4vllm4gptq33gemm_half_q_half_gptq_2bit_kernelILb1ELi3EEEvPK6__halfPKjS6_S4_PS2_iiiibPKi
		.amdhsa_group_segment_fixed_size 768
		.amdhsa_private_segment_fixed_size 0
		.amdhsa_kernarg_size 72
		.amdhsa_user_sgpr_count 6
		.amdhsa_user_sgpr_private_segment_buffer 1
		.amdhsa_user_sgpr_dispatch_ptr 0
		.amdhsa_user_sgpr_queue_ptr 0
		.amdhsa_user_sgpr_kernarg_segment_ptr 1
		.amdhsa_user_sgpr_dispatch_id 0
		.amdhsa_user_sgpr_flat_scratch_init 0
		.amdhsa_user_sgpr_private_segment_size 0
		.amdhsa_wavefront_size32 1
		.amdhsa_uses_dynamic_stack 0
		.amdhsa_system_sgpr_private_segment_wavefront_offset 0
		.amdhsa_system_sgpr_workgroup_id_x 1
		.amdhsa_system_sgpr_workgroup_id_y 1
		.amdhsa_system_sgpr_workgroup_id_z 1
		.amdhsa_system_sgpr_workgroup_info 0
		.amdhsa_system_vgpr_workitem_id 0
		.amdhsa_next_free_vgpr 67
		.amdhsa_next_free_sgpr 24
		.amdhsa_reserve_vcc 1
		.amdhsa_reserve_flat_scratch 0
		.amdhsa_float_round_mode_32 0
		.amdhsa_float_round_mode_16_64 0
		.amdhsa_float_denorm_mode_32 3
		.amdhsa_float_denorm_mode_16_64 3
		.amdhsa_dx10_clamp 1
		.amdhsa_ieee_mode 1
		.amdhsa_fp16_overflow 0
		.amdhsa_workgroup_processor_mode 1
		.amdhsa_memory_ordered 1
		.amdhsa_forward_progress 1
		.amdhsa_shared_vgpr_count 0
		.amdhsa_exception_fp_ieee_invalid_op 0
		.amdhsa_exception_fp_denorm_src 0
		.amdhsa_exception_fp_ieee_div_zero 0
		.amdhsa_exception_fp_ieee_overflow 0
		.amdhsa_exception_fp_ieee_underflow 0
		.amdhsa_exception_fp_ieee_inexact 0
		.amdhsa_exception_int_div_zero 0
	.end_amdhsa_kernel
	.section	.text._ZN4vllm4gptq33gemm_half_q_half_gptq_2bit_kernelILb1ELi3EEEvPK6__halfPKjS6_S4_PS2_iiiibPKi,"axG",@progbits,_ZN4vllm4gptq33gemm_half_q_half_gptq_2bit_kernelILb1ELi3EEEvPK6__halfPKjS6_S4_PS2_iiiibPKi,comdat
.Lfunc_end23:
	.size	_ZN4vllm4gptq33gemm_half_q_half_gptq_2bit_kernelILb1ELi3EEEvPK6__halfPKjS6_S4_PS2_iiiibPKi, .Lfunc_end23-_ZN4vllm4gptq33gemm_half_q_half_gptq_2bit_kernelILb1ELi3EEEvPK6__halfPKjS6_S4_PS2_iiiibPKi
                                        ; -- End function
	.set _ZN4vllm4gptq33gemm_half_q_half_gptq_2bit_kernelILb1ELi3EEEvPK6__halfPKjS6_S4_PS2_iiiibPKi.num_vgpr, 67
	.set _ZN4vllm4gptq33gemm_half_q_half_gptq_2bit_kernelILb1ELi3EEEvPK6__halfPKjS6_S4_PS2_iiiibPKi.num_agpr, 0
	.set _ZN4vllm4gptq33gemm_half_q_half_gptq_2bit_kernelILb1ELi3EEEvPK6__halfPKjS6_S4_PS2_iiiibPKi.numbered_sgpr, 24
	.set _ZN4vllm4gptq33gemm_half_q_half_gptq_2bit_kernelILb1ELi3EEEvPK6__halfPKjS6_S4_PS2_iiiibPKi.num_named_barrier, 0
	.set _ZN4vllm4gptq33gemm_half_q_half_gptq_2bit_kernelILb1ELi3EEEvPK6__halfPKjS6_S4_PS2_iiiibPKi.private_seg_size, 0
	.set _ZN4vllm4gptq33gemm_half_q_half_gptq_2bit_kernelILb1ELi3EEEvPK6__halfPKjS6_S4_PS2_iiiibPKi.uses_vcc, 1
	.set _ZN4vllm4gptq33gemm_half_q_half_gptq_2bit_kernelILb1ELi3EEEvPK6__halfPKjS6_S4_PS2_iiiibPKi.uses_flat_scratch, 0
	.set _ZN4vllm4gptq33gemm_half_q_half_gptq_2bit_kernelILb1ELi3EEEvPK6__halfPKjS6_S4_PS2_iiiibPKi.has_dyn_sized_stack, 0
	.set _ZN4vllm4gptq33gemm_half_q_half_gptq_2bit_kernelILb1ELi3EEEvPK6__halfPKjS6_S4_PS2_iiiibPKi.has_recursion, 0
	.set _ZN4vllm4gptq33gemm_half_q_half_gptq_2bit_kernelILb1ELi3EEEvPK6__halfPKjS6_S4_PS2_iiiibPKi.has_indirect_call, 0
	.section	.AMDGPU.csdata,"",@progbits
; Kernel info:
; codeLenInByte = 3920
; TotalNumSgprs: 26
; NumVgprs: 67
; ScratchSize: 0
; MemoryBound: 0
; FloatMode: 240
; IeeeMode: 1
; LDSByteSize: 768 bytes/workgroup (compile time only)
; SGPRBlocks: 0
; VGPRBlocks: 8
; NumSGPRsForWavesPerEU: 26
; NumVGPRsForWavesPerEU: 67
; Occupancy: 12
; WaveLimiterHint : 0
; COMPUTE_PGM_RSRC2:SCRATCH_EN: 0
; COMPUTE_PGM_RSRC2:USER_SGPR: 6
; COMPUTE_PGM_RSRC2:TRAP_HANDLER: 0
; COMPUTE_PGM_RSRC2:TGID_X_EN: 1
; COMPUTE_PGM_RSRC2:TGID_Y_EN: 1
; COMPUTE_PGM_RSRC2:TGID_Z_EN: 1
; COMPUTE_PGM_RSRC2:TIDIG_COMP_CNT: 0
	.section	.text._ZN4vllm4gptq33gemm_half_q_half_gptq_3bit_kernelILb1ELi3EEEvPK6__halfPKjS6_S4_PS2_iiiibPKi,"axG",@progbits,_ZN4vllm4gptq33gemm_half_q_half_gptq_3bit_kernelILb1ELi3EEEvPK6__halfPKjS6_S4_PS2_iiiibPKi,comdat
	.protected	_ZN4vllm4gptq33gemm_half_q_half_gptq_3bit_kernelILb1ELi3EEEvPK6__halfPKjS6_S4_PS2_iiiibPKi ; -- Begin function _ZN4vllm4gptq33gemm_half_q_half_gptq_3bit_kernelILb1ELi3EEEvPK6__halfPKjS6_S4_PS2_iiiibPKi
	.globl	_ZN4vllm4gptq33gemm_half_q_half_gptq_3bit_kernelILb1ELi3EEEvPK6__halfPKjS6_S4_PS2_iiiibPKi
	.p2align	8
	.type	_ZN4vllm4gptq33gemm_half_q_half_gptq_3bit_kernelILb1ELi3EEEvPK6__halfPKjS6_S4_PS2_iiiibPKi,@function
_ZN4vllm4gptq33gemm_half_q_half_gptq_3bit_kernelILb1ELi3EEEvPK6__halfPKjS6_S4_PS2_iiiibPKi: ; @_ZN4vllm4gptq33gemm_half_q_half_gptq_3bit_kernelILb1ELi3EEEvPK6__halfPKjS6_S4_PS2_iiiibPKi
; %bb.0:
	s_load_dwordx4 s[16:19], s[4:5], 0x2c
	s_lshl_b32 s20, s8, 7
	s_load_dwordx8 s[8:15], s[4:5], 0x8
	s_add_i32 s0, s20, 0x80
	s_mul_i32 s7, s7, 3
	v_cvt_f64_u32_e32 v[1:2], s0
	s_mov_b32 s22, exec_lo
	s_waitcnt lgkmcnt(0)
	v_cvt_f64_i32_e32 v[3:4], s17
	v_min_f64 v[1:2], v[1:2], v[3:4]
	v_cvt_i32_f64_e32 v2, v[1:2]
	v_add_nc_u32_e32 v1, s20, v0
	v_readfirstlane_b32 s21, v2
	v_cmpx_lt_u32_e64 v1, v2
	s_cbranch_execz .LBB24_8
; %bb.1:
	s_clause 0x1
	s_load_dwordx2 s[2:3], s[4:5], 0x40
	s_load_dwordx2 s[0:1], s[4:5], 0x0
	v_mov_b32_e32 v2, 0
	v_lshlrev_b64 v[3:4], 2, v[1:2]
	v_mov_b32_e32 v6, v2
	v_mov_b32_e32 v5, v1
	s_waitcnt lgkmcnt(0)
	v_add_co_u32 v3, vcc_lo, s2, v3
	v_add_co_ci_u32_e64 v4, null, s3, v4, vcc_lo
	s_cmp_lg_u64 s[2:3], 0
	s_cselect_b32 s4, -1, 0
	s_cmp_eq_u64 s[2:3], 0
	s_cbranch_scc1 .LBB24_3
; %bb.2:
	global_load_dword v5, v[3:4], off
	s_waitcnt vmcnt(0)
	v_ashrrev_i32_e32 v6, 31, v5
.LBB24_3:
	s_mul_i32 s2, s7, s17
	v_lshlrev_b64 v[5:6], 1, v[5:6]
	s_ashr_i32 s3, s2, 31
	v_cndmask_b32_e64 v8, 0, 1, s4
	s_lshl_b64 s[24:25], s[2:3], 1
	v_lshlrev_b32_e32 v7, 1, v0
	s_add_u32 s3, s0, s24
	s_addc_u32 s5, s1, s25
	v_add_co_u32 v5, vcc_lo, s3, v5
	v_add_co_ci_u32_e64 v6, null, s5, v6, vcc_lo
	s_andn2_b32 vcc_lo, exec_lo, s4
	global_load_ushort v9, v[5:6], off
	v_mov_b32_e32 v6, v2
	v_mov_b32_e32 v5, v1
	s_waitcnt vmcnt(0)
	ds_write_b16 v7, v9
	s_cbranch_vccnz .LBB24_5
; %bb.4:
	global_load_dword v5, v[3:4], off
	s_waitcnt vmcnt(0)
	v_ashrrev_i32_e32 v6, 31, v5
.LBB24_5:
	s_add_i32 s2, s2, s17
	v_lshlrev_b64 v[5:6], 1, v[5:6]
	s_ashr_i32 s3, s2, 31
	s_lshl_b64 s[4:5], s[2:3], 1
	s_add_u32 s3, s0, s4
	s_addc_u32 s4, s1, s5
	v_add_co_u32 v5, vcc_lo, s3, v5
	v_add_co_ci_u32_e64 v6, null, s4, v6, vcc_lo
	v_cmp_ne_u32_e32 vcc_lo, 1, v8
	global_load_ushort v5, v[5:6], off
	s_waitcnt vmcnt(0)
	ds_write_b16 v7, v5 offset:256
	s_cbranch_vccnz .LBB24_7
; %bb.6:
	global_load_dword v1, v[3:4], off
	s_waitcnt vmcnt(0)
	v_ashrrev_i32_e32 v2, 31, v1
.LBB24_7:
	s_add_i32 s2, s2, s17
	v_lshlrev_b64 v[1:2], 1, v[1:2]
	s_ashr_i32 s3, s2, 31
	s_lshl_b64 s[2:3], s[2:3], 1
	s_add_u32 s0, s0, s2
	s_addc_u32 s1, s1, s3
	v_add_co_u32 v1, vcc_lo, s0, v1
	v_add_co_ci_u32_e64 v2, null, s1, v2, vcc_lo
	global_load_ushort v1, v[1:2], off
	s_waitcnt vmcnt(0)
	ds_write_b16 v7, v1 offset:512
.LBB24_8:
	s_or_b32 exec_lo, exec_lo, s22
	v_lshlrev_b32_e32 v0, 2, v0
	s_mov_b32 s0, exec_lo
	v_lshl_add_u32 v12, s6, 9, v0
	v_cmpx_gt_i32_e64 s16, v12
	s_cbranch_execz .LBB24_58
; %bb.9:
	s_abs_i32 s0, s18
	s_abs_i32 s3, s17
	v_cvt_f32_u32_e32 v1, s0
	s_sub_i32 s2, 0, s0
	v_and_b32_e32 v2, 28, v0
	s_waitcnt lgkmcnt(0)
	s_barrier
	v_rcp_iflag_f32_e32 v1, v1
	buffer_gl0_inv
	v_cmp_lt_u32_e32 vcc_lo, 4, v2
                                        ; implicit-def: $vgpr3
                                        ; implicit-def: $vgpr0
	v_mul_f32_e32 v1, 0x4f7ffffe, v1
	v_cvt_u32_f32_e32 v1, v1
	v_readfirstlane_b32 s1, v1
	s_mul_i32 s2, s2, s1
	s_mul_hi_u32 s2, s1, s2
	s_add_i32 s1, s1, s2
	s_xor_b32 s2, s17, s18
	s_mul_hi_u32 s1, s3, s1
	s_ashr_i32 s2, s2, 31
	s_mul_i32 s4, s1, s0
	s_sub_i32 s3, s3, s4
	s_add_i32 s4, s1, 1
	s_sub_i32 s5, s3, s0
	s_cmp_ge_u32 s3, s0
	s_cselect_b32 s1, s4, s1
	s_cselect_b32 s3, s5, s3
	s_add_i32 s4, s1, 1
	s_cmp_ge_u32 s3, s0
	s_cselect_b32 s0, s4, s1
	s_xor_b32 s0, s0, s2
	s_sub_i32 s6, s0, s2
	v_cvt_f32_u32_e32 v1, s6
	s_sub_i32 s1, 0, s6
	v_rcp_iflag_f32_e32 v1, v1
	v_mul_f32_e32 v1, 0x4f7ffffe, v1
	v_cvt_u32_f32_e32 v1, v1
	v_readfirstlane_b32 s0, v1
	s_mul_i32 s1, s1, s0
	s_mul_hi_u32 s1, s0, s1
	s_add_i32 s0, s0, s1
	s_mul_hi_u32 s0, s20, s0
	s_mul_i32 s1, s0, s6
	s_add_i32 s2, s0, 1
	s_sub_i32 s1, s20, s1
	s_sub_i32 s3, s1, s6
	s_cmp_ge_u32 s1, s6
	s_cselect_b32 s0, s2, s0
	s_cselect_b32 s1, s3, s1
	s_add_i32 s2, s0, 1
	s_cmp_ge_u32 s1, s6
	s_cselect_b32 s18, s2, s0
	s_and_saveexec_b32 s0, vcc_lo
	s_xor_b32 s1, exec_lo, s0
	s_cbranch_execz .LBB24_23
; %bb.10:
	s_mov_b32 s2, exec_lo
                                        ; implicit-def: $vgpr3
                                        ; implicit-def: $vgpr0
	v_cmpx_ne_u32_e32 8, v2
	s_xor_b32 s2, exec_lo, s2
	s_cbranch_execz .LBB24_20
; %bb.11:
	s_mov_b32 s3, exec_lo
                                        ; implicit-def: $vgpr3
                                        ; implicit-def: $vgpr0
	v_cmpx_lt_u32_e32 16, v2
	s_xor_b32 s3, exec_lo, s3
	s_cbranch_execz .LBB24_17
; %bb.12:
	v_lshl_add_u32 v0, v12, 1, v12
	s_mul_i32 s4, s18, s16
                                        ; implicit-def: $vgpr3
	s_ashr_i32 s0, s4, 31
	s_lshr_b32 s0, s0, 27
	v_ashrrev_i32_e32 v1, 31, v0
	s_add_i32 s0, s4, s0
	s_ashr_i32 s0, s0, 5
	v_lshrrev_b32_e32 v1, 27, v1
	v_add_nc_u32_e32 v0, v0, v1
	v_ashrrev_i32_e32 v0, 5, v0
	v_mad_u64_u32 v[0:1], null, s0, 3, v[0:1]
	v_ashrrev_i32_e32 v1, 31, v0
	v_lshlrev_b64 v[0:1], 2, v[0:1]
	v_add_co_u32 v0, s0, s10, v0
	v_add_co_ci_u32_e64 v1, null, s11, v1, s0
	v_cmp_ne_u32_e64 s0, 20, v2
	global_load_dword v4, v[0:1], off
	s_and_saveexec_b32 s5, s0
	s_xor_b32 s0, exec_lo, s5
	s_cbranch_execz .LBB24_14
; %bb.13:
	v_mad_u32_u24 v0, v2, 3, 0xffffffc0
	s_waitcnt vmcnt(0)
	v_lshrrev_b32_e32 v3, v0, v4
                                        ; implicit-def: $vgpr0_vgpr1
                                        ; implicit-def: $vgpr4
.LBB24_14:
	s_andn2_saveexec_b32 s0, s0
	s_cbranch_execz .LBB24_16
; %bb.15:
	global_load_dword v0, v[0:1], off offset:4
	s_waitcnt vmcnt(0)
	v_alignbit_b32 v0, v0, v4, 28
	v_and_b32_e32 v3, 0xfff, v0
.LBB24_16:
	s_or_b32 exec_lo, exec_lo, s0
	v_mov_b32_e32 v0, s4
.LBB24_17:
	s_andn2_saveexec_b32 s3, s3
	s_cbranch_execz .LBB24_19
; %bb.18:
	v_lshl_add_u32 v0, v12, 1, v12
	s_mul_i32 s4, s18, s16
	s_ashr_i32 s0, s4, 31
	s_lshr_b32 s0, s0, 27
	v_ashrrev_i32_e32 v1, 31, v0
	s_add_i32 s0, s4, s0
	s_ashr_i32 s0, s0, 5
	v_lshrrev_b32_e32 v1, 27, v1
	v_add_nc_u32_e32 v0, v0, v1
	v_ashrrev_i32_e32 v0, 5, v0
	v_mad_u64_u32 v[0:1], null, s0, 3, v[0:1]
	v_ashrrev_i32_e32 v1, 31, v0
	v_lshlrev_b64 v[0:1], 2, v[0:1]
	v_add_co_u32 v0, s0, s10, v0
	v_add_co_ci_u32_e64 v1, null, s11, v1, s0
	global_load_dword v0, v[0:1], off
	v_mad_u32_u24 v1, v2, 3, 0xffffffe0
	s_waitcnt vmcnt(0)
	v_lshrrev_b32_e32 v3, v1, v0
	v_mov_b32_e32 v0, s4
.LBB24_19:
	s_or_b32 exec_lo, exec_lo, s3
.LBB24_20:
	s_andn2_saveexec_b32 s2, s2
	s_cbranch_execz .LBB24_22
; %bb.21:
	v_lshl_add_u32 v0, v12, 1, v12
	s_mul_i32 s3, s18, s16
	s_ashr_i32 s0, s3, 31
	s_lshr_b32 s0, s0, 27
	v_ashrrev_i32_e32 v1, 31, v0
	s_add_i32 s0, s3, s0
	s_ashr_i32 s0, s0, 5
	v_lshrrev_b32_e32 v1, 27, v1
	v_add_nc_u32_e32 v0, v0, v1
	v_ashrrev_i32_e32 v0, 5, v0
	v_mad_u64_u32 v[0:1], null, s0, 3, v[0:1]
	v_ashrrev_i32_e32 v1, 31, v0
	v_lshlrev_b64 v[0:1], 2, v[0:1]
	v_add_co_u32 v0, s0, s10, v0
	v_add_co_ci_u32_e64 v1, null, s11, v1, s0
	global_load_dwordx2 v[0:1], v[0:1], off
	s_waitcnt vmcnt(0)
	v_perm_b32 v0, v0, v1, 0x2010007
	v_and_b32_e32 v3, 0xfff, v0
	v_mov_b32_e32 v0, s3
.LBB24_22:
	s_or_b32 exec_lo, exec_lo, s2
.LBB24_23:
	s_or_saveexec_b32 s1, s1
	v_lshl_add_u32 v1, v12, 1, v12
	v_mul_u32_u24_e32 v32, 3, v2
	s_waitcnt vmcnt(0)
	v_ashrrev_i32_e32 v4, 31, v1
	s_xor_b32 exec_lo, exec_lo, s1
	s_cbranch_execz .LBB24_25
; %bb.24:
	v_lshrrev_b32_e32 v0, 27, v4
	s_mul_i32 s2, s18, s16
	s_ashr_i32 s0, s2, 31
	s_lshr_b32 s0, s0, 27
	v_add_nc_u32_e32 v0, v1, v0
	s_add_i32 s0, s2, s0
	s_ashr_i32 s0, s0, 5
	v_ashrrev_i32_e32 v0, 5, v0
	v_mad_u64_u32 v[5:6], null, s0, 3, v[0:1]
	v_ashrrev_i32_e32 v6, 31, v5
	v_lshlrev_b64 v[5:6], 2, v[5:6]
	v_add_co_u32 v5, s0, s10, v5
	v_add_co_ci_u32_e64 v6, null, s11, v6, s0
	global_load_dword v0, v[5:6], off
	s_waitcnt vmcnt(0)
	v_lshrrev_b32_e32 v3, v32, v0
	v_mov_b32_e32 v0, s2
.LBB24_25:
	s_or_b32 exec_lo, exec_lo, s1
	v_mov_b32_e32 v36, 0
	v_mov_b32_e32 v35, 0
	;; [unrolled: 1-line block ×6, first 2 shown]
	s_cmp_ge_i32 s20, s21
	s_mov_b32 s22, 0
	s_cbranch_scc1 .LBB24_46
; %bb.26:
	v_add_nc_u32_e32 v5, v0, v12
	v_lshrrev_b32_e32 v0, 27, v4
	v_ashrrev_i32_e32 v13, 31, v12
	s_add_i32 s23, s6, s20
	v_bfe_u32 v41, v3, 9, 3
	v_ashrrev_i32_e32 v6, 31, v5
	v_add_nc_u32_e32 v0, v1, v0
	v_bfe_u32 v42, v3, 6, 3
	v_bfe_u32 v43, v3, 3, 3
	v_and_b32_e32 v44, 7, v3
	v_lshlrev_b64 v[5:6], 1, v[5:6]
	v_ashrrev_i32_e32 v14, 5, v0
	v_lshlrev_b64 v[0:1], 2, v[12:13]
	v_cmp_lt_u32_e64 s1, 16, v2
	v_cmp_ne_u32_e64 s2, 20, v2
	v_mad_u32_u24 v38, v2, 3, 0xffffffc0
	v_add_co_u32 v5, s0, s12, v5
	v_add_co_ci_u32_e64 v6, null, s13, v6, s0
	s_lshr_b32 s0, s20, 5
	v_mad_u32_u24 v39, v2, 3, 0xffffffe0
	s_mul_i32 s0, s0, s16
	global_load_dwordx2 v[17:18], v[5:6], off
	s_mul_i32 s4, s0, 3
	v_mov_b32_e32 v13, 0
	s_ashr_i32 s5, s4, 31
	s_bitcmp1_b32 s19, 0
	v_mov_b32_e32 v40, 0x10001
	s_cselect_b32 s0, -1, 0
	s_lshl_b64 s[4:5], s[4:5], 2
	s_xor_b32 s0, s0, -1
	s_ashr_i32 s17, s16, 31
	s_add_u32 s3, s8, s4
	s_addc_u32 s4, s9, s5
	v_add_co_u32 v15, s3, s3, v0
	v_cndmask_b32_e64 v37, 0, 1, s0
	v_cmp_ne_u32_e64 s0, 8, v2
	v_add_co_ci_u32_e64 v16, null, s4, v1, s3
	v_mov_b32_e32 v31, 0
	v_mov_b32_e32 v33, 0
	;; [unrolled: 1-line block ×5, first 2 shown]
	s_mul_hi_i32 s8, s16, 12
	s_mul_i32 s9, s16, 12
	s_lshl_b64 s[4:5], s[16:17], 2
	s_mov_b32 s17, 0x10001
	s_mov_b32 s19, 0x70007
	;; [unrolled: 1-line block ×4, first 2 shown]
	s_branch .LBB24_29
.LBB24_27:                              ;   in Loop: Header=BB24_29 Depth=1
	s_or_b32 exec_lo, exec_lo, s3
	v_add_nc_u32_e32 v0, s26, v12
	v_and_b32_e32 v44, 7, v2
	v_bfe_u32 v43, v2, 3, 3
	v_bfe_u32 v42, v2, 6, 3
	;; [unrolled: 1-line block ×3, first 2 shown]
	v_ashrrev_i32_e32 v1, 31, v0
	s_add_i32 s23, s23, s6
	v_lshlrev_b64 v[0:1], 1, v[0:1]
	v_add_co_u32 v0, s3, s12, v0
	v_add_co_ci_u32_e64 v1, null, s13, v1, s3
	global_load_dwordx2 v[17:18], v[0:1], off
.LBB24_28:                              ;   in Loop: Header=BB24_29 Depth=1
	v_add_co_u32 v0, s3, v15, s4
	v_add_co_ci_u32_e64 v1, null, s5, v16, s3
	global_load_dwordx4 v[8:11], v[15:16], off
	v_add_nc_u32_e32 v22, v44, v37
	v_add_nc_u32_e32 v21, v43, v37
	global_load_dwordx4 v[4:7], v[0:1], off
	v_add_co_u32 v0, s3, v0, s4
	v_add_co_ci_u32_e64 v1, null, s5, v1, s3
	v_add_nc_u32_e32 v20, v42, v37
	v_add_nc_u32_e32 v19, v41, v37
	v_mov_b32_e32 v27, s22
	global_load_dwordx4 v[0:3], v[0:1], off
	v_cvt_f32_u32_e32 v23, v22
	v_mad_u32_u24 v25, v22, s17, 0xe400e400
	v_cvt_f32_u32_e32 v22, v21
	v_mad_u32_u24 v26, v21, s17, 0xe400e400
	;; [unrolled: 2-line block ×3, first 2 shown]
	v_cvt_f32_u32_e32 v20, v19
	v_cvt_f16_f32_e32 v73, v23
	v_cvt_f16_f32_e32 v72, v22
	;; [unrolled: 1-line block ×3, first 2 shown]
	ds_read2_b32 v[79:80], v27 offset1:1
	ds_read2_b32 v[85:86], v27 offset0:64 offset1:65
	v_cvt_f16_f32_e32 v22, v20
	v_mad_u32_u24 v45, v19, s17, 0xe400e400
	v_sub_f16_e32 v19, 0xd800, v73
	v_sub_f16_e32 v20, 0xd800, v72
	;; [unrolled: 1-line block ×5, first 2 shown]
	v_mul_u32_u24_sdwa v60, v19, v40 dst_sel:DWORD dst_unused:UNUSED_PAD src0_sel:WORD_0 src1_sel:DWORD
	v_mul_u32_u24_sdwa v54, v20, v40 dst_sel:DWORD dst_unused:UNUSED_PAD src0_sel:WORD_0 src1_sel:DWORD
	;; [unrolled: 1-line block ×4, first 2 shown]
	v_sub_f16_e32 v72, 0xcc00, v72
	v_sub_f16_e32 v21, 0xcc00, v21
	;; [unrolled: 1-line block ×3, first 2 shown]
	v_add_co_u32 v15, s3, v15, s9
	v_add_co_ci_u32_e64 v16, null, s8, v16, s3
	s_add_i32 s20, s20, 32
	s_add_i32 s22, s22, 64
	s_cmp_ge_i32 s20, s21
	s_waitcnt vmcnt(2)
	v_and_or_b32 v19, v8, s19, 0x64006400
	v_and_or_b32 v20, v8, s24, 0x64006400
	v_lshrrev_b32_e32 v76, 6, v8
	v_lshrrev_b32_e32 v29, 15, v8
	v_and_or_b32 v8, v9, s19, 0x64006400
	v_and_or_b32 v46, v9, s24, 0x64006400
	v_lshrrev_b32_e32 v75, 6, v9
	v_lshrrev_b32_e32 v30, 15, v9
	v_and_or_b32 v9, v10, s19, 0x64006400
	v_and_or_b32 v49, v11, s24, 0x64006400
	v_pk_add_f16 v89, v26, v8
	v_and_or_b32 v47, v10, s24, 0x64006400
	v_and_or_b32 v48, v11, s19, 0x64006400
	v_pk_add_f16 v87, v25, v19
	v_pk_fma_f16 v90, 0x3000, v46, v54 op_sel_hi:[0,1,1]
	v_pk_add_f16 v91, v28, v9
	v_pk_fma_f16 v94, 0x3000, v49, v23 op_sel_hi:[0,1,1]
	s_waitcnt vmcnt(0)
	v_and_or_b32 v49, v0, s19, 0x64006400
	v_and_or_b32 v66, v0, s24, 0x64006400
	v_lshrrev_b32_e32 v51, 6, v0
	v_lshrrev_b32_e32 v71, 13, v0
	s_waitcnt lgkmcnt(1)
	v_pk_fma_f16 v0, v89, v79, 0
	v_pk_fma_f16 v88, 0x3000, v20, v60 op_sel_hi:[0,1,1]
	v_pk_fma_f16 v92, 0x3000, v47, v24 op_sel_hi:[0,1,1]
	v_pk_add_f16 v93, v45, v48
	v_and_or_b32 v50, v1, s19, 0x64006400
	v_and_or_b32 v63, v1, s24, 0x64006400
	v_lshrrev_b32_e32 v53, 6, v1
	v_lshrrev_b32_e32 v65, 13, v1
	v_pk_fma_f16 v1, v91, v79, 0
	v_pk_fma_f16 v82, v90, v80, v0
	s_waitcnt lgkmcnt(0)
	v_pk_fma_f16 v0, v87, v85, 0
	v_lshrrev_b32_e32 v74, 6, v10
	v_lshrrev_b32_e32 v67, 15, v10
	;; [unrolled: 1-line block ×4, first 2 shown]
	v_and_or_b32 v11, v4, s19, 0x64006400
	v_and_or_b32 v9, v4, s24, 0x64006400
	v_lshrrev_b32_e32 v68, 6, v4
	v_lshrrev_b32_e32 v19, 14, v4
	v_and_or_b32 v77, v5, s19, 0x64006400
	v_and_or_b32 v8, v5, s24, 0x64006400
	v_lshrrev_b32_e32 v62, 6, v5
	v_lshrrev_b32_e32 v20, 14, v5
	;; [unrolled: 4-line block ×4, first 2 shown]
	v_pk_fma_f16 v7, v87, v79, 0
	v_and_or_b32 v48, v2, s19, 0x64006400
	v_and_or_b32 v58, v2, s24, 0x64006400
	v_lshrrev_b32_e32 v52, 6, v2
	v_lshrrev_b32_e32 v61, 13, v2
	v_pk_fma_f16 v2, v93, v79, 0
	v_pk_fma_f16 v83, v92, v80, v1
	;; [unrolled: 1-line block ×7, first 2 shown]
	v_and_or_b32 v46, v3, s19, 0x64006400
	v_pk_fma_f16 v7, v92, v86, v0
	v_pk_fma_f16 v0, v93, v85, 0
	v_and_or_b32 v56, v3, s24, 0x64006400
	v_pk_fma_f16 v2, v90, v86, v2
	v_lshrrev_b32_e32 v47, 6, v3
	v_lshrrev_b32_e32 v59, 13, v3
	v_pk_fma_f16 v79, v94, v86, v0
	ds_read2_b32 v[85:86], v27 offset0:128 offset1:129
	v_pk_add_f16 v77, v26, v77
	v_pk_add_f16 v78, v28, v78
	v_pk_fma_f16 v9, 0x3000, v9, v60 op_sel_hi:[0,1,1]
	v_pk_fma_f16 v8, 0x3000, v8, v54 op_sel_hi:[0,1,1]
	;; [unrolled: 1-line block ×4, first 2 shown]
	v_and_b32_e32 v70, 0x20002, v70
	v_and_b32_e32 v71, 0x40004, v71
	;; [unrolled: 1-line block ×5, first 2 shown]
	v_and_or_b32 v67, 0x10001, v67, v70
	v_and_or_b32 v70, v68, s24, 0x64006400
	;; [unrolled: 1-line block ×3, first 2 shown]
	v_pk_fma_f16 v64, 0x3000, v66, v60 op_sel_hi:[0,1,1]
	v_and_or_b32 v66, v62, s24, 0x64006400
	v_or3_b32 v67, v67, v61, 0x64006400
	v_pk_fma_f16 v70, 0x3000, v70, v60 op_sel_hi:[0,1,1]
	v_pk_fma_f16 v61, 0x3000, v58, v24 op_sel_hi:[0,1,1]
	s_waitcnt lgkmcnt(0)
	v_pk_fma_f16 v0, v87, v85, 0
	v_pk_fma_f16 v3, v89, v85, 0
	;; [unrolled: 1-line block ×4, first 2 shown]
	v_and_or_b32 v87, v76, s19, 0x64006400
	v_and_or_b32 v89, v75, s19, 0x64006400
	v_pk_fma_f16 v3, v90, v86, v3
	v_and_or_b32 v90, v75, s24, 0x64006400
	v_pk_fma_f16 v85, v94, v86, v85
	ds_read2_b32 v[94:95], v27 offset0:2 offset1:3
	v_pk_fma_f16 v0, v88, v86, v0
	v_pk_fma_f16 v80, v92, v86, v80
	v_and_or_b32 v86, v76, s24, 0x64006400
	v_pk_add_f16 v88, v25, v87
	v_pk_add_f16 v89, v26, v89
	v_pk_fma_f16 v87, 0x3000, v90, v54 op_sel_hi:[0,1,1]
	v_and_or_b32 v90, v74, s19, 0x64006400
	v_and_or_b32 v92, v10, s19, 0x64006400
	v_pk_fma_f16 v86, 0x3000, v86, v60 op_sel_hi:[0,1,1]
	v_pk_fma_f16 v66, 0x3000, v66, v54 op_sel_hi:[0,1,1]
	v_and_b32_e32 v59, 0x40004, v59
	v_pk_add_f16 v91, v28, v90
	v_pk_add_f16 v93, v45, v92
	v_and_or_b32 v90, v74, s24, 0x64006400
	v_and_or_b32 v92, v10, s24, 0x64006400
	;; [unrolled: 1-line block ×3, first 2 shown]
	v_or3_b32 v69, v69, v59, 0x64006400
	v_pk_fma_f16 v90, 0x3000, v90, v24 op_sel_hi:[0,1,1]
	s_waitcnt lgkmcnt(0)
	v_pk_fma_f16 v81, v88, v94, v81
	v_pk_fma_f16 v82, v89, v94, v82
	v_pk_fma_f16 v83, v91, v94, v83
	v_pk_fma_f16 v84, v93, v94, v84
	v_pk_fma_f16 v92, 0x3000, v92, v23 op_sel_hi:[0,1,1]
	v_pk_fma_f16 v94, v86, v95, v81
	v_pk_fma_f16 v96, v87, v95, v82
	ds_read2_b32 v[81:82], v27 offset0:66 offset1:67
	v_pk_fma_f16 v83, v90, v95, v83
	v_pk_fma_f16 v84, v92, v95, v84
	s_waitcnt lgkmcnt(0)
	v_pk_fma_f16 v1, v88, v81, v1
	v_pk_fma_f16 v2, v89, v81, v2
	;; [unrolled: 1-line block ×6, first 2 shown]
	ds_read2_b32 v[1:2], v27 offset0:130 offset1:131
	v_pk_fma_f16 v7, v90, v82, v7
	v_pk_fma_f16 v82, v92, v82, v79
	s_waitcnt lgkmcnt(0)
	v_pk_fma_f16 v0, v88, v1, v0
	v_pk_fma_f16 v3, v89, v1, v3
	;; [unrolled: 1-line block ×4, first 2 shown]
	v_mul_u32_u24_sdwa v85, v73, v40 dst_sel:DWORD dst_unused:UNUSED_PAD src0_sel:WORD_0 src1_sel:DWORD
	v_pk_fma_f16 v86, v86, v2, v0
	v_pk_fma_f16 v87, v87, v2, v3
	;; [unrolled: 1-line block ×4, first 2 shown]
	ds_read2_b32 v[0:1], v27 offset0:4 offset1:5
	ds_read2_b32 v[2:3], v27 offset0:68 offset1:69
	;; [unrolled: 1-line block ×3, first 2 shown]
	v_and_or_b32 v73, v76, s25, 0x64006400
	v_mul_u32_u24_sdwa v76, v72, v40 dst_sel:DWORD dst_unused:UNUSED_PAD src0_sel:WORD_0 src1_sel:DWORD
	v_and_or_b32 v72, v75, s25, 0x64006400
	v_pk_add_f16 v93, v45, v6
	v_pk_fma_f16 v73, 0x2400, v73, v85 op_sel_hi:[0,1,1]
	v_pk_fma_f16 v72, 0x2400, v72, v76 op_sel_hi:[0,1,1]
	s_waitcnt lgkmcnt(2)
	v_pk_fma_f16 v90, v73, v0, v94
	s_waitcnt lgkmcnt(1)
	v_pk_fma_f16 v81, v73, v2, v81
	;; [unrolled: 2-line block ×3, first 2 shown]
	v_pk_fma_f16 v75, v72, v0, v96
	v_pk_fma_f16 v91, v72, v2, v95
	;; [unrolled: 1-line block ×3, first 2 shown]
	v_mul_u32_u24_sdwa v73, v21, v40 dst_sel:DWORD dst_unused:UNUSED_PAD src0_sel:WORD_0 src1_sel:DWORD
	v_mul_u32_u24_sdwa v72, v22, v40 dst_sel:DWORD dst_unused:UNUSED_PAD src0_sel:WORD_0 src1_sel:DWORD
	v_and_or_b32 v21, v74, s25, 0x64006400
	v_pk_add_f16 v74, v25, v11
	v_pk_fma_f16 v75, v77, v1, v75
	v_pk_fma_f16 v10, 0x2400, v10, v72 op_sel_hi:[0,1,1]
	v_pk_fma_f16 v21, 0x2400, v21, v73 op_sel_hi:[0,1,1]
	v_pk_fma_f16 v6, v21, v0, v83
	v_pk_fma_f16 v0, v10, v0, v84
	;; [unrolled: 1-line block ×6, first 2 shown]
	ds_read2_b32 v[10:11], v27 offset0:6 offset1:7
	ds_read2_b32 v[21:22], v27 offset0:70 offset1:71
	;; [unrolled: 1-line block ×3, first 2 shown]
	v_pk_fma_f16 v83, v74, v1, v90
	v_pk_fma_f16 v84, v78, v1, v6
	;; [unrolled: 1-line block ×10, first 2 shown]
	v_and_or_b32 v80, v68, s19, 0x64006400
	v_pk_fma_f16 v90, v93, v3, v2
	ds_read2_b32 v[6:7], v27 offset0:8 offset1:9
	ds_read2_b32 v[2:3], v27 offset0:10 offset1:11
	v_and_or_b32 v82, v62, s19, 0x64006400
	v_pk_add_f16 v91, v25, v80
	v_and_or_b32 v68, v68, s25, 0x64006400
	s_waitcnt lgkmcnt(4)
	v_pk_fma_f16 v83, v9, v10, v83
	s_waitcnt lgkmcnt(3)
	v_pk_fma_f16 v86, v9, v21, v1
	;; [unrolled: 2-line block ×3, first 2 shown]
	v_and_or_b32 v1, v57, s19, 0x64006400
	v_and_or_b32 v74, v55, s19, 0x64006400
	v_pk_fma_f16 v75, v8, v10, v75
	v_pk_fma_f16 v81, v8, v21, v81
	;; [unrolled: 1-line block ×3, first 2 shown]
	v_pk_add_f16 v92, v26, v82
	v_pk_add_f16 v93, v28, v1
	;; [unrolled: 1-line block ×3, first 2 shown]
	v_pk_fma_f16 v1, v5, v10, v84
	v_pk_fma_f16 v0, v4, v10, v0
	;; [unrolled: 1-line block ×9, first 2 shown]
	v_and_b32_e32 v91, 0x20002, v19
	v_pk_fma_f16 v75, v92, v11, v75
	v_pk_fma_f16 v80, v92, v22, v81
	;; [unrolled: 1-line block ×3, first 2 shown]
	v_and_b32_e32 v92, 0x20002, v20
	v_pk_fma_f16 v87, v93, v88, v89
	v_pk_fma_f16 v86, v94, v88, v90
	v_and_or_b32 v88, 0x10001, v29, v91
	v_and_or_b32 v90, v51, s24, 0x64006400
	v_and_or_b32 v89, 0x10001, v30, v92
	ds_read2_b32 v[4:5], v27 offset0:12 offset1:13
	ds_read2_b32 v[8:9], v27 offset0:74 offset1:75
	v_or3_b32 v71, v88, v71, 0x64006400
	v_and_or_b32 v88, v51, s25, 0x64006400
	v_pk_fma_f16 v77, v93, v11, v1
	v_pk_fma_f16 v78, v94, v11, v0
	ds_read2_b32 v[0:1], v27 offset0:14 offset1:15
	v_pk_fma_f16 v81, v93, v22, v10
	ds_read2_b32 v[10:11], v27 offset0:72 offset1:73
	v_pk_fma_f16 v60, 0x3000, v90, v60 op_sel_hi:[0,1,1]
	v_and_or_b32 v90, v62, s25, 0x64006400
	v_pk_fma_f16 v68, 0x2400, v68, v85 op_sel_hi:[0,1,1]
	v_pk_fma_f16 v62, 0x2400, v88, v85 op_sel_hi:[0,1,1]
	v_and_or_b32 v85, v53, s24, 0x64006400
	v_or3_b32 v88, v89, v65, 0x64006400
	v_and_or_b32 v89, v53, s25, 0x64006400
	v_pk_fma_f16 v82, v94, v22, v21
	ds_read2_b32 v[21:22], v27 offset0:76 offset1:77
	ds_read2_b32 v[19:20], v27 offset0:78 offset1:79
	;; [unrolled: 1-line block ×3, first 2 shown]
	v_pk_fma_f16 v65, 0x3000, v63, v54 op_sel_hi:[0,1,1]
	v_pk_fma_f16 v54, 0x3000, v85, v54 op_sel_hi:[0,1,1]
	v_and_or_b32 v63, v57, s24, 0x64006400
	v_and_or_b32 v85, v57, s25, 0x64006400
	v_pk_fma_f16 v90, 0x2400, v90, v76 op_sel_hi:[0,1,1]
	v_pk_fma_f16 v57, 0x2400, v89, v76 op_sel_hi:[0,1,1]
	v_and_or_b32 v76, v52, s24, 0x64006400
	v_and_or_b32 v89, v52, s25, 0x64006400
	v_pk_fma_f16 v91, 0x3000, v63, v24 op_sel_hi:[0,1,1]
	v_and_or_b32 v63, v55, s25, 0x64006400
	v_and_or_b32 v51, v51, s19, 0x64006400
	v_pk_fma_f16 v58, 0x3000, v76, v24 op_sel_hi:[0,1,1]
	v_and_or_b32 v24, v55, s24, 0x64006400
	v_pk_fma_f16 v76, 0x2400, v85, v73 op_sel_hi:[0,1,1]
	v_pk_fma_f16 v55, 0x2400, v89, v73 op_sel_hi:[0,1,1]
	v_and_or_b32 v73, v47, s24, 0x64006400
	v_and_or_b32 v85, v47, s25, 0x64006400
	v_pk_fma_f16 v89, 0x3000, v24, v23 op_sel_hi:[0,1,1]
	v_pk_fma_f16 v92, 0x2400, v63, v72 op_sel_hi:[0,1,1]
	;; [unrolled: 1-line block ×5, first 2 shown]
	ds_read2_b32 v[23:24], v27 offset0:138 offset1:139
	v_pk_add_f16 v72, v25, v49
	v_and_or_b32 v52, v52, s19, 0x64006400
	v_pk_add_f16 v49, v26, v88
	v_and_or_b32 v88, v47, s19, 0x64006400
	v_and_or_b32 v53, v53, s19, 0x64006400
	v_pk_add_f16 v73, v26, v50
	v_pk_add_f16 v85, v25, v51
	;; [unrolled: 1-line block ×9, first 2 shown]
	s_waitcnt lgkmcnt(9)
	v_pk_fma_f16 v52, v70, v6, v74
	v_pk_fma_f16 v67, v66, v6, v75
	;; [unrolled: 1-line block ×4, first 2 shown]
	s_waitcnt lgkmcnt(4)
	v_pk_fma_f16 v74, v70, v10, v79
	v_pk_fma_f16 v75, v66, v10, v80
	;; [unrolled: 1-line block ×3, first 2 shown]
	v_pk_add_f16 v53, v26, v53
	ds_read2_b32 v[25:26], v27 offset0:140 offset1:141
	v_pk_fma_f16 v10, v89, v10, v82
	s_waitcnt lgkmcnt(2)
	v_pk_fma_f16 v70, v70, v29, v83
	v_pk_fma_f16 v66, v66, v29, v84
	;; [unrolled: 1-line block ×24, first 2 shown]
	s_waitcnt lgkmcnt(1)
	v_pk_fma_f16 v10, v72, v23, v11
	v_pk_fma_f16 v11, v73, v23, v66
	;; [unrolled: 1-line block ×19, first 2 shown]
	ds_read2_b32 v[27:28], v27 offset0:142 offset1:143
	v_pk_fma_f16 v7, v46, v21, v8
	s_waitcnt lgkmcnt(1)
	v_pk_fma_f16 v8, v85, v25, v9
	v_pk_fma_f16 v9, v53, v25, v10
	;; [unrolled: 1-line block ×29, first 2 shown]
	v_pack_b32_f16 v19, v6, v7
	v_perm_b32 v6, v7, v6, 0x7060302
	v_pk_fma_f16 v4, v63, v24, v4
	s_waitcnt lgkmcnt(0)
	v_pk_fma_f16 v7, v62, v27, v8
	v_pk_fma_f16 v8, v48, v25, v11
	;; [unrolled: 1-line block ×5, first 2 shown]
	v_pk_add_f16 v6, v19, v6
	v_pk_fma_f16 v8, v58, v26, v8
	v_pk_fma_f16 v9, v57, v27, v9
	;; [unrolled: 1-line block ×7, first 2 shown]
	v_pack_b32_f16 v6, v1, v2
	v_pk_fma_f16 v4, v56, v27, v4
	v_perm_b32 v1, v2, v1, 0x7060302
	v_pk_fma_f16 v8, v47, v28, v8
	v_pack_b32_f16 v2, v7, v9
	v_perm_b32 v7, v9, v7, 0x7060302
	v_pk_fma_f16 v4, v45, v28, v4
	v_pack_b32_f16 v9, v10, v0
	v_perm_b32 v0, v0, v10, 0x7060302
	v_pack_b32_f16 v10, v3, v5
	v_perm_b32 v3, v5, v3, 0x7060302
	;; [unrolled: 2-line block ×3, first 2 shown]
	v_pk_add_f16 v1, v6, v1
	v_pk_add_f16 v2, v2, v7
	;; [unrolled: 1-line block ×5, first 2 shown]
	v_pk_fma_f16 v34, v1, v17, v34
	v_pk_fma_f16 v31, v2, v17, v31
	;; [unrolled: 1-line block ×5, first 2 shown]
	s_cbranch_scc1 .LBB24_46
.LBB24_29:                              ; =>This Inner Loop Header: Depth=1
	s_cmp_lg_u32 s20, s23
	s_cbranch_scc1 .LBB24_28
; %bb.30:                               ;   in Loop: Header=BB24_29 Depth=1
	s_add_i32 s18, s18, 1
                                        ; implicit-def: $vgpr2
	s_mul_i32 s26, s18, s16
	s_ashr_i32 s3, s26, 31
	s_lshr_b32 s3, s3, 27
	s_add_i32 s3, s26, s3
	s_ashr_i32 s3, s3, 5
	v_mad_u64_u32 v[0:1], null, s3, 3, v[14:15]
	v_ashrrev_i32_e32 v1, 31, v0
	v_lshlrev_b64 v[0:1], 2, v[0:1]
	v_add_co_u32 v0, s3, s10, v0
	v_add_co_ci_u32_e64 v1, null, s11, v1, s3
	global_load_dword v3, v[0:1], off
	s_and_saveexec_b32 s3, vcc_lo
	s_xor_b32 s3, exec_lo, s3
	s_cbranch_execz .LBB24_44
; %bb.31:                               ;   in Loop: Header=BB24_29 Depth=1
                                        ; implicit-def: $vgpr2
	s_and_saveexec_b32 s27, s0
	s_xor_b32 s27, exec_lo, s27
	s_cbranch_execz .LBB24_41
; %bb.32:                               ;   in Loop: Header=BB24_29 Depth=1
                                        ; implicit-def: $vgpr2
	s_and_saveexec_b32 s28, s1
	;; [unrolled: 5-line block ×3, first 2 shown]
	s_xor_b32 s29, exec_lo, s29
	s_cbranch_execz .LBB24_35
; %bb.34:                               ;   in Loop: Header=BB24_29 Depth=1
	s_waitcnt vmcnt(0)
	v_lshrrev_b32_e32 v2, v38, v3
                                        ; implicit-def: $vgpr0_vgpr1
                                        ; implicit-def: $vgpr3
.LBB24_35:                              ;   in Loop: Header=BB24_29 Depth=1
	s_andn2_saveexec_b32 s29, s29
	s_cbranch_execz .LBB24_37
; %bb.36:                               ;   in Loop: Header=BB24_29 Depth=1
	global_load_dword v0, v[0:1], off offset:4
	s_waitcnt vmcnt(0)
	v_alignbit_b32 v0, v0, v3, 28
	v_and_b32_e32 v2, 0xfff, v0
.LBB24_37:                              ;   in Loop: Header=BB24_29 Depth=1
	s_or_b32 exec_lo, exec_lo, s29
                                        ; implicit-def: $vgpr3
.LBB24_38:                              ;   in Loop: Header=BB24_29 Depth=1
	s_andn2_saveexec_b32 s28, s28
	s_cbranch_execz .LBB24_40
; %bb.39:                               ;   in Loop: Header=BB24_29 Depth=1
	s_waitcnt vmcnt(0)
	v_lshrrev_b32_e32 v2, v39, v3
.LBB24_40:                              ;   in Loop: Header=BB24_29 Depth=1
	s_or_b32 exec_lo, exec_lo, s28
                                        ; implicit-def: $vgpr0_vgpr1
                                        ; implicit-def: $vgpr3
.LBB24_41:                              ;   in Loop: Header=BB24_29 Depth=1
	s_andn2_saveexec_b32 s27, s27
	s_cbranch_execz .LBB24_43
; %bb.42:                               ;   in Loop: Header=BB24_29 Depth=1
	global_load_dword v0, v[0:1], off offset:4
	s_waitcnt vmcnt(0)
	v_perm_b32 v0, v3, v0, 0x2010007
	v_and_b32_e32 v2, 0xfff, v0
.LBB24_43:                              ;   in Loop: Header=BB24_29 Depth=1
	s_or_b32 exec_lo, exec_lo, s27
                                        ; implicit-def: $vgpr3
.LBB24_44:                              ;   in Loop: Header=BB24_29 Depth=1
	s_andn2_saveexec_b32 s3, s3
	s_cbranch_execz .LBB24_27
; %bb.45:                               ;   in Loop: Header=BB24_29 Depth=1
	s_waitcnt vmcnt(0)
	v_lshrrev_b32_e32 v2, v32, v3
	s_branch .LBB24_27
.LBB24_46:
	v_mad_u64_u32 v[0:1], null, s7, s16, v[12:13]
	s_mov_b32 s0, 0
	v_ashrrev_i32_e32 v1, 31, v0
	v_lshlrev_b64 v[1:2], 1, v[0:1]
	v_add_co_u32 v1, vcc_lo, s14, v1
	v_add_co_ci_u32_e64 v2, null, s15, v2, vcc_lo
	global_load_dword v4, v[1:2], off
.LBB24_47:                              ; =>This Inner Loop Header: Depth=1
	s_waitcnt vmcnt(0)
	v_pk_add_f16 v3, v36, v4
	global_atomic_cmpswap v3, v[1:2], v[3:4], off glc
	s_waitcnt vmcnt(0)
	v_cmp_eq_u32_e32 vcc_lo, v4, v3
	v_mov_b32_e32 v4, v3
	s_or_b32 s0, vcc_lo, s0
	s_andn2_b32 exec_lo, exec_lo, s0
	s_cbranch_execnz .LBB24_47
; %bb.48:
	s_or_b32 exec_lo, exec_lo, s0
	global_load_dword v4, v[1:2], off offset:4
	s_mov_b32 s0, 0
.LBB24_49:                              ; =>This Inner Loop Header: Depth=1
	s_waitcnt vmcnt(0)
	v_pk_add_f16 v3, v35, v4
	global_atomic_cmpswap v3, v[1:2], v[3:4], off offset:4 glc
	s_waitcnt vmcnt(0)
	v_cmp_eq_u32_e32 vcc_lo, v4, v3
	v_mov_b32_e32 v4, v3
	s_or_b32 s0, vcc_lo, s0
	s_andn2_b32 exec_lo, exec_lo, s0
	s_cbranch_execnz .LBB24_49
; %bb.50:
	s_or_b32 exec_lo, exec_lo, s0
	v_add_nc_u32_e32 v0, s16, v0
	s_mov_b32 s0, 0
	v_ashrrev_i32_e32 v1, 31, v0
	v_lshlrev_b64 v[1:2], 1, v[0:1]
	v_add_co_u32 v1, vcc_lo, s14, v1
	v_add_co_ci_u32_e64 v2, null, s15, v2, vcc_lo
	global_load_dword v4, v[1:2], off
.LBB24_51:                              ; =>This Inner Loop Header: Depth=1
	s_waitcnt vmcnt(0)
	v_pk_add_f16 v3, v34, v4
	global_atomic_cmpswap v3, v[1:2], v[3:4], off glc
	s_waitcnt vmcnt(0)
	v_cmp_eq_u32_e32 vcc_lo, v4, v3
	v_mov_b32_e32 v4, v3
	s_or_b32 s0, vcc_lo, s0
	s_andn2_b32 exec_lo, exec_lo, s0
	s_cbranch_execnz .LBB24_51
; %bb.52:
	s_or_b32 exec_lo, exec_lo, s0
	global_load_dword v4, v[1:2], off offset:4
	s_mov_b32 s0, 0
.LBB24_53:                              ; =>This Inner Loop Header: Depth=1
	s_waitcnt vmcnt(0)
	v_pk_add_f16 v3, v33, v4
	global_atomic_cmpswap v3, v[1:2], v[3:4], off offset:4 glc
	s_waitcnt vmcnt(0)
	v_cmp_eq_u32_e32 vcc_lo, v4, v3
	v_mov_b32_e32 v4, v3
	s_or_b32 s0, vcc_lo, s0
	s_andn2_b32 exec_lo, exec_lo, s0
	s_cbranch_execnz .LBB24_53
; %bb.54:
	s_or_b32 exec_lo, exec_lo, s0
	v_add_nc_u32_e32 v0, s16, v0
	s_mov_b32 s0, 0
	v_ashrrev_i32_e32 v1, 31, v0
	v_lshlrev_b64 v[0:1], 1, v[0:1]
	v_add_co_u32 v0, vcc_lo, s14, v0
	v_add_co_ci_u32_e64 v1, null, s15, v1, vcc_lo
	global_load_dword v3, v[0:1], off
.LBB24_55:                              ; =>This Inner Loop Header: Depth=1
	s_waitcnt vmcnt(0)
	v_pk_add_f16 v2, v31, v3
	global_atomic_cmpswap v2, v[0:1], v[2:3], off glc
	s_waitcnt vmcnt(0)
	v_cmp_eq_u32_e32 vcc_lo, v3, v2
	v_mov_b32_e32 v3, v2
	s_or_b32 s0, vcc_lo, s0
	s_andn2_b32 exec_lo, exec_lo, s0
	s_cbranch_execnz .LBB24_55
; %bb.56:
	s_or_b32 exec_lo, exec_lo, s0
	global_load_dword v3, v[0:1], off offset:4
	s_mov_b32 s0, 0
.LBB24_57:                              ; =>This Inner Loop Header: Depth=1
	s_waitcnt vmcnt(0)
	v_pk_add_f16 v2, v13, v3
	global_atomic_cmpswap v2, v[0:1], v[2:3], off offset:4 glc
	s_waitcnt vmcnt(0)
	v_cmp_eq_u32_e32 vcc_lo, v3, v2
	v_mov_b32_e32 v3, v2
	s_or_b32 s0, vcc_lo, s0
	s_andn2_b32 exec_lo, exec_lo, s0
	s_cbranch_execnz .LBB24_57
.LBB24_58:
	s_endpgm
	.section	.rodata,"a",@progbits
	.p2align	6, 0x0
	.amdhsa_kernel _ZN4vllm4gptq33gemm_half_q_half_gptq_3bit_kernelILb1ELi3EEEvPK6__halfPKjS6_S4_PS2_iiiibPKi
		.amdhsa_group_segment_fixed_size 768
		.amdhsa_private_segment_fixed_size 0
		.amdhsa_kernarg_size 72
		.amdhsa_user_sgpr_count 6
		.amdhsa_user_sgpr_private_segment_buffer 1
		.amdhsa_user_sgpr_dispatch_ptr 0
		.amdhsa_user_sgpr_queue_ptr 0
		.amdhsa_user_sgpr_kernarg_segment_ptr 1
		.amdhsa_user_sgpr_dispatch_id 0
		.amdhsa_user_sgpr_flat_scratch_init 0
		.amdhsa_user_sgpr_private_segment_size 0
		.amdhsa_wavefront_size32 1
		.amdhsa_uses_dynamic_stack 0
		.amdhsa_system_sgpr_private_segment_wavefront_offset 0
		.amdhsa_system_sgpr_workgroup_id_x 1
		.amdhsa_system_sgpr_workgroup_id_y 1
		.amdhsa_system_sgpr_workgroup_id_z 1
		.amdhsa_system_sgpr_workgroup_info 0
		.amdhsa_system_vgpr_workitem_id 0
		.amdhsa_next_free_vgpr 97
		.amdhsa_next_free_sgpr 30
		.amdhsa_reserve_vcc 1
		.amdhsa_reserve_flat_scratch 0
		.amdhsa_float_round_mode_32 0
		.amdhsa_float_round_mode_16_64 0
		.amdhsa_float_denorm_mode_32 3
		.amdhsa_float_denorm_mode_16_64 3
		.amdhsa_dx10_clamp 1
		.amdhsa_ieee_mode 1
		.amdhsa_fp16_overflow 0
		.amdhsa_workgroup_processor_mode 1
		.amdhsa_memory_ordered 1
		.amdhsa_forward_progress 1
		.amdhsa_shared_vgpr_count 0
		.amdhsa_exception_fp_ieee_invalid_op 0
		.amdhsa_exception_fp_denorm_src 0
		.amdhsa_exception_fp_ieee_div_zero 0
		.amdhsa_exception_fp_ieee_overflow 0
		.amdhsa_exception_fp_ieee_underflow 0
		.amdhsa_exception_fp_ieee_inexact 0
		.amdhsa_exception_int_div_zero 0
	.end_amdhsa_kernel
	.section	.text._ZN4vllm4gptq33gemm_half_q_half_gptq_3bit_kernelILb1ELi3EEEvPK6__halfPKjS6_S4_PS2_iiiibPKi,"axG",@progbits,_ZN4vllm4gptq33gemm_half_q_half_gptq_3bit_kernelILb1ELi3EEEvPK6__halfPKjS6_S4_PS2_iiiibPKi,comdat
.Lfunc_end24:
	.size	_ZN4vllm4gptq33gemm_half_q_half_gptq_3bit_kernelILb1ELi3EEEvPK6__halfPKjS6_S4_PS2_iiiibPKi, .Lfunc_end24-_ZN4vllm4gptq33gemm_half_q_half_gptq_3bit_kernelILb1ELi3EEEvPK6__halfPKjS6_S4_PS2_iiiibPKi
                                        ; -- End function
	.set _ZN4vllm4gptq33gemm_half_q_half_gptq_3bit_kernelILb1ELi3EEEvPK6__halfPKjS6_S4_PS2_iiiibPKi.num_vgpr, 97
	.set _ZN4vllm4gptq33gemm_half_q_half_gptq_3bit_kernelILb1ELi3EEEvPK6__halfPKjS6_S4_PS2_iiiibPKi.num_agpr, 0
	.set _ZN4vllm4gptq33gemm_half_q_half_gptq_3bit_kernelILb1ELi3EEEvPK6__halfPKjS6_S4_PS2_iiiibPKi.numbered_sgpr, 30
	.set _ZN4vllm4gptq33gemm_half_q_half_gptq_3bit_kernelILb1ELi3EEEvPK6__halfPKjS6_S4_PS2_iiiibPKi.num_named_barrier, 0
	.set _ZN4vllm4gptq33gemm_half_q_half_gptq_3bit_kernelILb1ELi3EEEvPK6__halfPKjS6_S4_PS2_iiiibPKi.private_seg_size, 0
	.set _ZN4vllm4gptq33gemm_half_q_half_gptq_3bit_kernelILb1ELi3EEEvPK6__halfPKjS6_S4_PS2_iiiibPKi.uses_vcc, 1
	.set _ZN4vllm4gptq33gemm_half_q_half_gptq_3bit_kernelILb1ELi3EEEvPK6__halfPKjS6_S4_PS2_iiiibPKi.uses_flat_scratch, 0
	.set _ZN4vllm4gptq33gemm_half_q_half_gptq_3bit_kernelILb1ELi3EEEvPK6__halfPKjS6_S4_PS2_iiiibPKi.has_dyn_sized_stack, 0
	.set _ZN4vllm4gptq33gemm_half_q_half_gptq_3bit_kernelILb1ELi3EEEvPK6__halfPKjS6_S4_PS2_iiiibPKi.has_recursion, 0
	.set _ZN4vllm4gptq33gemm_half_q_half_gptq_3bit_kernelILb1ELi3EEEvPK6__halfPKjS6_S4_PS2_iiiibPKi.has_indirect_call, 0
	.section	.AMDGPU.csdata,"",@progbits
; Kernel info:
; codeLenInByte = 6364
; TotalNumSgprs: 32
; NumVgprs: 97
; ScratchSize: 0
; MemoryBound: 0
; FloatMode: 240
; IeeeMode: 1
; LDSByteSize: 768 bytes/workgroup (compile time only)
; SGPRBlocks: 0
; VGPRBlocks: 12
; NumSGPRsForWavesPerEU: 32
; NumVGPRsForWavesPerEU: 97
; Occupancy: 9
; WaveLimiterHint : 0
; COMPUTE_PGM_RSRC2:SCRATCH_EN: 0
; COMPUTE_PGM_RSRC2:USER_SGPR: 6
; COMPUTE_PGM_RSRC2:TRAP_HANDLER: 0
; COMPUTE_PGM_RSRC2:TGID_X_EN: 1
; COMPUTE_PGM_RSRC2:TGID_Y_EN: 1
; COMPUTE_PGM_RSRC2:TGID_Z_EN: 1
; COMPUTE_PGM_RSRC2:TIDIG_COMP_CNT: 0
	.section	.text._ZN4vllm4gptq33gemm_half_q_half_gptq_4bit_kernelILb1ELi3EEEvPK6__halfPKjS6_S4_PS2_iiiibPKi,"axG",@progbits,_ZN4vllm4gptq33gemm_half_q_half_gptq_4bit_kernelILb1ELi3EEEvPK6__halfPKjS6_S4_PS2_iiiibPKi,comdat
	.protected	_ZN4vllm4gptq33gemm_half_q_half_gptq_4bit_kernelILb1ELi3EEEvPK6__halfPKjS6_S4_PS2_iiiibPKi ; -- Begin function _ZN4vllm4gptq33gemm_half_q_half_gptq_4bit_kernelILb1ELi3EEEvPK6__halfPKjS6_S4_PS2_iiiibPKi
	.globl	_ZN4vllm4gptq33gemm_half_q_half_gptq_4bit_kernelILb1ELi3EEEvPK6__halfPKjS6_S4_PS2_iiiibPKi
	.p2align	8
	.type	_ZN4vllm4gptq33gemm_half_q_half_gptq_4bit_kernelILb1ELi3EEEvPK6__halfPKjS6_S4_PS2_iiiibPKi,@function
_ZN4vllm4gptq33gemm_half_q_half_gptq_4bit_kernelILb1ELi3EEEvPK6__halfPKjS6_S4_PS2_iiiibPKi: ; @_ZN4vllm4gptq33gemm_half_q_half_gptq_4bit_kernelILb1ELi3EEEvPK6__halfPKjS6_S4_PS2_iiiibPKi
; %bb.0:
	s_load_dwordx4 s[0:3], s[4:5], 0x2c
	s_lshl_b32 s18, s8, 7
	s_mul_i32 s7, s7, 3
	s_add_i32 s8, s18, 0x80
	s_mov_b32 s20, exec_lo
	v_cvt_f64_u32_e32 v[1:2], s8
	s_load_dwordx8 s[8:15], s[4:5], 0x8
	s_waitcnt lgkmcnt(0)
	v_cvt_f64_i32_e32 v[3:4], s1
	v_min_f64 v[1:2], v[1:2], v[3:4]
	v_cvt_i32_f64_e32 v2, v[1:2]
	v_add_nc_u32_e32 v1, s18, v0
	v_readfirstlane_b32 s19, v2
	v_cmpx_lt_u32_e64 v1, v2
	s_cbranch_execz .LBB25_8
; %bb.1:
	s_clause 0x1
	s_load_dwordx2 s[16:17], s[4:5], 0x40
	s_load_dwordx2 s[4:5], s[4:5], 0x0
	v_mov_b32_e32 v2, 0
	v_lshlrev_b64 v[3:4], 2, v[1:2]
	v_mov_b32_e32 v6, v2
	v_mov_b32_e32 v5, v1
	s_waitcnt lgkmcnt(0)
	v_add_co_u32 v3, vcc_lo, s16, v3
	v_add_co_ci_u32_e64 v4, null, s17, v4, vcc_lo
	s_cmp_lg_u64 s[16:17], 0
	s_cselect_b32 s21, -1, 0
	s_cmp_eq_u64 s[16:17], 0
	s_cbranch_scc1 .LBB25_3
; %bb.2:
	global_load_dword v5, v[3:4], off
	s_waitcnt vmcnt(0)
	v_ashrrev_i32_e32 v6, 31, v5
.LBB25_3:
	s_mul_i32 s16, s7, s1
	v_lshlrev_b64 v[5:6], 1, v[5:6]
	s_ashr_i32 s17, s16, 31
	v_cndmask_b32_e64 v8, 0, 1, s21
	s_lshl_b64 s[22:23], s[16:17], 1
	v_lshlrev_b32_e32 v7, 1, v0
	s_add_u32 s17, s4, s22
	s_addc_u32 s22, s5, s23
	v_add_co_u32 v5, vcc_lo, s17, v5
	v_add_co_ci_u32_e64 v6, null, s22, v6, vcc_lo
	s_andn2_b32 vcc_lo, exec_lo, s21
	global_load_ushort v9, v[5:6], off
	v_mov_b32_e32 v6, v2
	v_mov_b32_e32 v5, v1
	s_waitcnt vmcnt(0)
	ds_write_b16 v7, v9
	s_cbranch_vccnz .LBB25_5
; %bb.4:
	global_load_dword v5, v[3:4], off
	s_waitcnt vmcnt(0)
	v_ashrrev_i32_e32 v6, 31, v5
.LBB25_5:
	s_add_i32 s16, s16, s1
	v_lshlrev_b64 v[5:6], 1, v[5:6]
	s_ashr_i32 s17, s16, 31
	s_lshl_b64 s[22:23], s[16:17], 1
	s_add_u32 s17, s4, s22
	s_addc_u32 s21, s5, s23
	v_add_co_u32 v5, vcc_lo, s17, v5
	v_add_co_ci_u32_e64 v6, null, s21, v6, vcc_lo
	v_cmp_ne_u32_e32 vcc_lo, 1, v8
	global_load_ushort v5, v[5:6], off
	s_waitcnt vmcnt(0)
	ds_write_b16 v7, v5 offset:256
	s_cbranch_vccnz .LBB25_7
; %bb.6:
	global_load_dword v1, v[3:4], off
	s_waitcnt vmcnt(0)
	v_ashrrev_i32_e32 v2, 31, v1
.LBB25_7:
	s_add_i32 s16, s16, s1
	v_lshlrev_b64 v[1:2], 1, v[1:2]
	s_ashr_i32 s17, s16, 31
	s_lshl_b64 s[16:17], s[16:17], 1
	s_add_u32 s4, s4, s16
	s_addc_u32 s5, s5, s17
	v_add_co_u32 v1, vcc_lo, s4, v1
	v_add_co_ci_u32_e64 v2, null, s5, v2, vcc_lo
	global_load_ushort v1, v[1:2], off
	s_waitcnt vmcnt(0)
	ds_write_b16 v7, v1 offset:512
.LBB25_8:
	s_or_b32 exec_lo, exec_lo, s20
	v_lshlrev_b32_e32 v1, 2, v0
	s_mov_b32 s4, exec_lo
	v_lshl_add_u32 v1, s6, 9, v1
	v_cmpx_gt_i32_e64 s0, v1
	s_cbranch_execz .LBB25_26
; %bb.9:
	s_abs_i32 s4, s2
	v_mov_b32_e32 v9, 0
	v_cvt_f32_u32_e32 v2, s4
	v_mov_b32_e32 v6, 0
	v_mov_b32_e32 v7, 0
	;; [unrolled: 1-line block ×4, first 2 shown]
	v_rcp_iflag_f32_e32 v2, v2
	v_mov_b32_e32 v11, 0
	v_mov_b32_e32 v12, 0
	;; [unrolled: 1-line block ×7, first 2 shown]
	s_cmp_ge_i32 s18, s19
	s_waitcnt lgkmcnt(0)
	v_mul_f32_e32 v2, 0x4f7ffffe, v2
	s_barrier
	buffer_gl0_inv
	v_cvt_u32_f32_e32 v2, v2
	v_readfirstlane_b32 s5, v2
	s_cbranch_scc1 .LBB25_14
; %bb.10:
	s_sub_i32 s6, 0, s4
	s_abs_i32 s16, s1
	s_mul_i32 s6, s6, s5
	s_ashr_i32 s1, s1, 31
	s_mul_hi_u32 s6, s5, s6
	s_ashr_i32 s2, s2, 31
	s_add_i32 s5, s5, s6
	s_xor_b32 s1, s1, s2
	s_mul_hi_u32 s5, s16, s5
	v_lshlrev_b32_e32 v21, 4, v0
	s_mul_i32 s6, s5, s4
	s_mov_b32 s20, 0xe400e400
	s_sub_i32 s2, s16, s6
	s_add_i32 s6, s5, 1
	s_sub_i32 s16, s2, s4
	s_cmp_ge_u32 s2, s4
	v_and_b32_e32 v19, 16, v21
	s_cselect_b32 s5, s6, s5
	s_cselect_b32 s2, s16, s2
	s_add_i32 s6, s5, 1
	s_cmp_ge_u32 s2, s4
	v_mov_b32_e32 v0, 0x10001
	s_cselect_b32 s2, s6, s5
	v_mov_b32_e32 v17, 0
	s_xor_b32 s2, s2, s1
	v_mov_b32_e32 v18, 0
	s_sub_i32 s6, s2, s1
	s_bitcmp1_b32 s3, 0
	v_cvt_f32_u32_e32 v2, s6
	s_cselect_b32 s2, -1, 0
	s_sub_i32 s3, 0, s6
	s_xor_b32 s4, s2, -1
	v_mov_b32_e32 v16, 0
	v_rcp_iflag_f32_e32 v2, v2
	v_cndmask_b32_e64 v20, 0, 1, s4
	v_mov_b32_e32 v15, 0
	v_mov_b32_e32 v13, 0
	;; [unrolled: 1-line block ×7, first 2 shown]
	s_mov_b32 s17, 0
	v_mul_f32_e32 v2, 0x4f7ffffe, v2
	v_cvt_u32_f32_e32 v2, v2
	v_readfirstlane_b32 s1, v2
	v_ashrrev_i32_e32 v2, 31, v1
	s_mul_i32 s3, s3, s1
	v_lshrrev_b32_e32 v3, 29, v2
	s_mul_hi_u32 s3, s1, s3
	s_add_i32 s1, s1, s3
	v_add_nc_u32_e32 v3, v1, v3
	s_mul_hi_u32 s1, s18, s1
	s_mul_i32 s3, s1, s6
	s_sub_i32 s2, s18, s3
	s_add_i32 s3, s1, 1
	s_sub_i32 s5, s2, s6
	s_cmp_ge_u32 s2, s6
	v_ashrrev_i32_e32 v14, 3, v3
	s_cselect_b32 s1, s3, s1
	s_cselect_b32 s2, s5, s2
	s_add_i32 s3, s1, 1
	s_cmp_ge_u32 s2, s6
	s_cselect_b32 s16, s3, s1
	s_mul_i32 s1, s16, s0
	s_ashr_i32 s2, s1, 31
	v_add_nc_u32_e32 v5, s1, v1
	s_lshr_b32 s2, s2, 29
	s_add_i32 s2, s1, s2
	s_lshr_b32 s1, s18, 3
	s_ashr_i32 s2, s2, 3
	v_ashrrev_i32_e32 v6, 31, v5
	v_add_nc_u32_e32 v3, s2, v14
	s_mul_i32 s2, s0, s1
	s_ashr_i32 s3, s2, 31
	v_lshlrev_b64 v[5:6], 1, v[5:6]
	v_ashrrev_i32_e32 v4, 31, v3
	s_lshl_b64 s[2:3], s[2:3], 2
	s_add_u32 s2, s8, s2
	s_addc_u32 s3, s9, s3
	v_lshlrev_b64 v[3:4], 2, v[3:4]
	s_ashr_i32 s1, s0, 31
	s_add_i32 s8, s6, s18
	s_lshl_b64 s[4:5], s[0:1], 2
	s_mov_b32 s9, 0xf000f0
	v_add_co_u32 v3, vcc_lo, s10, v3
	v_add_co_ci_u32_e64 v4, null, s11, v4, vcc_lo
	v_add_co_u32 v5, vcc_lo, s12, v5
	v_add_co_ci_u32_e64 v6, null, s13, v6, vcc_lo
	global_load_dword v9, v[3:4], off
	global_load_dwordx2 v[4:5], v[5:6], off
	v_lshlrev_b64 v[2:3], 2, v[1:2]
	v_mov_b32_e32 v6, 0
	v_add_co_u32 v2, vcc_lo, s2, v2
	v_add_co_ci_u32_e64 v3, null, s3, v3, vcc_lo
	s_lshl_b64 s[2:3], s[0:1], 4
	s_mov_b32 s1, 0xf000f
	s_waitcnt vmcnt(1)
	v_lshrrev_b32_e32 v24, v21, v9
	s_waitcnt vmcnt(0)
	v_cvt_f32_f16_e32 v21, v4
	v_cvt_f32_f16_sdwa v22, v4 dst_sel:DWORD dst_unused:UNUSED_PAD src0_sel:WORD_1
	v_bfe_u32 v4, v9, v19, 4
	v_cvt_f32_f16_e32 v23, v5
	v_bfe_u32 v9, v24, 12, 4
	v_bfe_u32 v25, v24, 8, 4
	;; [unrolled: 1-line block ×3, first 2 shown]
	v_add_nc_u32_e32 v4, v4, v20
	v_cvt_f32_f16_sdwa v24, v5 dst_sel:DWORD dst_unused:UNUSED_PAD src0_sel:WORD_1
	v_add_nc_u32_e32 v5, v9, v20
	v_add_nc_u32_e32 v9, v25, v20
	;; [unrolled: 1-line block ×3, first 2 shown]
	v_cvt_f32_ubyte0_e32 v27, v4
	v_mad_u32_u24 v25, 0x10001, v4, s20
	v_cvt_f32_ubyte0_e32 v4, v5
	v_cvt_f32_ubyte0_e32 v29, v9
	;; [unrolled: 1-line block ×3, first 2 shown]
	v_mad_u32_u24 v26, 0x10001, v5, s20
	v_cvt_f16_f32_e32 v5, v27
	v_cvt_f16_f32_e32 v4, v4
	;; [unrolled: 1-line block ×4, first 2 shown]
	v_mad_u32_u24 v27, 0x10001, v9, s20
	v_sub_f16_e32 v5, 0xd400, v5
	v_sub_f16_e32 v4, 0xd400, v4
	;; [unrolled: 1-line block ×4, first 2 shown]
	v_mad_u32_u24 v28, 0x10001, v28, s20
	v_mul_u32_u24_sdwa v29, v5, v0 dst_sel:DWORD dst_unused:UNUSED_PAD src0_sel:WORD_0 src1_sel:DWORD
	v_mul_u32_u24_sdwa v30, v4, v0 dst_sel:DWORD dst_unused:UNUSED_PAD src0_sel:WORD_0 src1_sel:DWORD
	;; [unrolled: 1-line block ×4, first 2 shown]
	v_mov_b32_e32 v9, 0
	s_branch .LBB25_12
.LBB25_11:                              ;   in Loop: Header=BB25_12 Depth=1
	global_load_dwordx4 v[33:36], v[2:3], off
	s_add_i32 s18, s18, 32
	s_waitcnt vmcnt(0)
	v_and_or_b32 v4, v33, s1, 0x64006400
	v_and_or_b32 v5, v33, s9, 0x64006400
	v_lshrrev_b32_e32 v33, 8, v33
	v_pk_add_f16 v38, v25, v4
	v_pk_fma_f16 v39, 0x2c00, v5, v29 op_sel_hi:[0,1,1]
	v_and_or_b32 v37, v33, s1, 0x64006400
	v_and_or_b32 v33, v33, s9, 0x64006400
	;; [unrolled: 1-line block ×4, first 2 shown]
	v_pk_add_f16 v37, v25, v37
	v_pk_fma_f16 v40, 0x2c00, v33, v29 op_sel_hi:[0,1,1]
	v_lshrrev_b32_e32 v33, 8, v34
	v_pk_add_f16 v41, v28, v4
	v_pk_fma_f16 v42, 0x2c00, v5, v32 op_sel_hi:[0,1,1]
	v_and_or_b32 v4, v35, s1, 0x64006400
	v_and_or_b32 v5, v35, s9, 0x64006400
	;; [unrolled: 1-line block ×4, first 2 shown]
	v_pk_add_f16 v45, v27, v4
	v_pk_fma_f16 v46, 0x2c00, v5, v31 op_sel_hi:[0,1,1]
	v_pk_add_f16 v43, v28, v34
	v_pk_fma_f16 v44, 0x2c00, v33, v32 op_sel_hi:[0,1,1]
	v_lshrrev_b32_e32 v33, 8, v35
	v_and_or_b32 v4, v36, s1, 0x64006400
	v_and_or_b32 v5, v36, s9, 0x64006400
	;; [unrolled: 1-line block ×4, first 2 shown]
	v_pk_fma_f16 v49, 0x2c00, v5, v30 op_sel_hi:[0,1,1]
	v_pk_add_f16 v47, v27, v34
	v_pk_fma_f16 v48, 0x2c00, v33, v31 op_sel_hi:[0,1,1]
	v_lshrrev_b32_e32 v33, 8, v36
	v_pk_add_f16 v36, v26, v4
	v_and_or_b32 v34, v33, s1, 0x64006400
	v_and_or_b32 v33, v33, s9, 0x64006400
	v_pk_add_f16 v50, v26, v34
	v_pk_fma_f16 v51, 0x2c00, v33, v30 op_sel_hi:[0,1,1]
	v_mov_b32_e32 v33, s17
	s_add_i32 s17, s17, 64
	s_cmp_ge_i32 s18, s19
	ds_read2_b32 v[4:5], v33 offset1:1
	s_waitcnt lgkmcnt(0)
	v_pk_fma_f16 v34, v38, v4, 0
	v_pk_fma_f16 v52, v39, v5, v34
	ds_read2_b32 v[34:35], v33 offset0:2 offset1:3
	s_waitcnt lgkmcnt(0)
	v_pk_fma_f16 v52, v37, v34, v52
	v_pk_fma_f16 v52, v40, v35, v52
	v_cvt_f32_f16_e32 v53, v52
	v_cvt_f32_f16_sdwa v52, v52 dst_sel:DWORD dst_unused:UNUSED_PAD src0_sel:WORD_1
	v_add_f32_e32 v52, v53, v52
	v_fmac_f32_e32 v17, v52, v21
	v_pk_fma_f16 v52, v41, v4, 0
	v_pk_fma_f16 v52, v42, v5, v52
	;; [unrolled: 1-line block ×4, first 2 shown]
	v_cvt_f32_f16_e32 v53, v52
	v_cvt_f32_f16_sdwa v52, v52 dst_sel:DWORD dst_unused:UNUSED_PAD src0_sel:WORD_1
	v_add_f32_e32 v52, v53, v52
	v_fmac_f32_e32 v18, v52, v22
	v_pk_fma_f16 v52, v45, v4, 0
	v_pk_fma_f16 v4, v36, v4, 0
	;; [unrolled: 1-line block ×8, first 2 shown]
	v_cvt_f32_f16_e32 v53, v52
	v_cvt_f32_f16_e32 v5, v4
	v_cvt_f32_f16_sdwa v4, v4 dst_sel:DWORD dst_unused:UNUSED_PAD src0_sel:WORD_1
	v_cvt_f32_f16_sdwa v52, v52 dst_sel:DWORD dst_unused:UNUSED_PAD src0_sel:WORD_1
	v_add_f32_e32 v4, v5, v4
	v_add_f32_e32 v52, v53, v52
	v_fmac_f32_e32 v15, v4, v24
	ds_read2_b32 v[4:5], v33 offset0:64 offset1:65
	v_fmac_f32_e32 v16, v52, v23
	s_waitcnt lgkmcnt(0)
	v_pk_fma_f16 v34, v38, v4, 0
	v_pk_fma_f16 v52, v39, v5, v34
	ds_read2_b32 v[34:35], v33 offset0:66 offset1:67
	s_waitcnt lgkmcnt(0)
	v_pk_fma_f16 v52, v37, v34, v52
	v_pk_fma_f16 v52, v40, v35, v52
	v_cvt_f32_f16_e32 v53, v52
	v_cvt_f32_f16_sdwa v52, v52 dst_sel:DWORD dst_unused:UNUSED_PAD src0_sel:WORD_1
	v_add_f32_e32 v52, v53, v52
	v_fmac_f32_e32 v13, v52, v21
	v_pk_fma_f16 v52, v41, v4, 0
	v_pk_fma_f16 v52, v42, v5, v52
	;; [unrolled: 1-line block ×4, first 2 shown]
	v_cvt_f32_f16_e32 v53, v52
	v_cvt_f32_f16_sdwa v52, v52 dst_sel:DWORD dst_unused:UNUSED_PAD src0_sel:WORD_1
	v_add_f32_e32 v52, v53, v52
	v_fmac_f32_e32 v12, v52, v22
	v_pk_fma_f16 v52, v45, v4, 0
	v_pk_fma_f16 v4, v36, v4, 0
	v_pk_fma_f16 v52, v46, v5, v52
	v_pk_fma_f16 v4, v49, v5, v4
	v_pk_fma_f16 v52, v47, v34, v52
	v_pk_fma_f16 v4, v50, v34, v4
	v_pk_fma_f16 v52, v48, v35, v52
	v_pk_fma_f16 v4, v51, v35, v4
	v_cvt_f32_f16_e32 v53, v52
	v_cvt_f32_f16_e32 v5, v4
	v_cvt_f32_f16_sdwa v4, v4 dst_sel:DWORD dst_unused:UNUSED_PAD src0_sel:WORD_1
	v_cvt_f32_f16_sdwa v52, v52 dst_sel:DWORD dst_unused:UNUSED_PAD src0_sel:WORD_1
	v_add_f32_e32 v4, v5, v4
	v_add_f32_e32 v52, v53, v52
	v_fmac_f32_e32 v10, v4, v24
	ds_read2_b32 v[4:5], v33 offset0:128 offset1:129
	v_fmac_f32_e32 v11, v52, v23
	s_waitcnt lgkmcnt(0)
	v_pk_fma_f16 v34, v38, v4, 0
	v_pk_fma_f16 v38, v39, v5, v34
	ds_read2_b32 v[34:35], v33 offset0:130 offset1:131
	s_waitcnt lgkmcnt(0)
	v_pk_fma_f16 v37, v37, v34, v38
	v_pk_fma_f16 v37, v40, v35, v37
	v_cvt_f32_f16_e32 v38, v37
	v_cvt_f32_f16_sdwa v37, v37 dst_sel:DWORD dst_unused:UNUSED_PAD src0_sel:WORD_1
	v_add_f32_e32 v37, v38, v37
	v_fmac_f32_e32 v8, v37, v21
	v_pk_fma_f16 v37, v41, v4, 0
	v_pk_fma_f16 v37, v42, v5, v37
	;; [unrolled: 1-line block ×4, first 2 shown]
	v_cvt_f32_f16_e32 v38, v37
	v_cvt_f32_f16_sdwa v37, v37 dst_sel:DWORD dst_unused:UNUSED_PAD src0_sel:WORD_1
	v_add_f32_e32 v37, v38, v37
	v_fmac_f32_e32 v7, v37, v22
	v_pk_fma_f16 v37, v45, v4, 0
	v_pk_fma_f16 v4, v36, v4, 0
	;; [unrolled: 1-line block ×8, first 2 shown]
	v_cvt_f32_f16_e32 v38, v37
	v_cvt_f32_f16_e32 v5, v4
	v_cvt_f32_f16_sdwa v4, v4 dst_sel:DWORD dst_unused:UNUSED_PAD src0_sel:WORD_1
	v_cvt_f32_f16_sdwa v37, v37 dst_sel:DWORD dst_unused:UNUSED_PAD src0_sel:WORD_1
	v_add_f32_e32 v4, v5, v4
	v_add_f32_e32 v37, v38, v37
	v_fmac_f32_e32 v9, v4, v24
	v_add_co_u32 v4, vcc_lo, v2, s4
	v_add_co_ci_u32_e64 v5, null, s5, v3, vcc_lo
	v_fmac_f32_e32 v6, v37, v23
	global_load_dwordx4 v[34:37], v[4:5], off
	v_add_co_u32 v4, vcc_lo, v4, s4
	v_add_co_ci_u32_e64 v5, null, s5, v5, vcc_lo
	s_waitcnt vmcnt(0)
	v_and_or_b32 v38, v34, s1, 0x64006400
	v_and_or_b32 v39, v34, s9, 0x64006400
	v_lshrrev_b32_e32 v34, 8, v34
	v_and_or_b32 v42, v35, s9, 0x64006400
	v_pk_add_f16 v38, v25, v38
	v_pk_fma_f16 v39, 0x2c00, v39, v29 op_sel_hi:[0,1,1]
	v_and_or_b32 v40, v34, s1, 0x64006400
	v_and_or_b32 v34, v34, s9, 0x64006400
	v_pk_fma_f16 v42, 0x2c00, v42, v32 op_sel_hi:[0,1,1]
	v_pk_add_f16 v40, v25, v40
	v_pk_fma_f16 v41, 0x2c00, v34, v29 op_sel_hi:[0,1,1]
	v_and_or_b32 v34, v35, s1, 0x64006400
	v_lshrrev_b32_e32 v35, 8, v35
	v_pk_add_f16 v44, v28, v34
	v_and_or_b32 v43, v35, s1, 0x64006400
	v_and_or_b32 v35, v35, s9, 0x64006400
	;; [unrolled: 1-line block ×3, first 2 shown]
	v_pk_add_f16 v43, v28, v43
	v_pk_fma_f16 v45, 0x2c00, v35, v32 op_sel_hi:[0,1,1]
	v_and_or_b32 v35, v36, s9, 0x64006400
	v_pk_add_f16 v47, v27, v34
	v_and_or_b32 v34, v37, s1, 0x64006400
	v_lshrrev_b32_e32 v36, 8, v36
	v_pk_fma_f16 v48, 0x2c00, v35, v31 op_sel_hi:[0,1,1]
	v_and_or_b32 v35, v37, s9, 0x64006400
	v_pk_add_f16 v50, v26, v34
	v_and_or_b32 v46, v36, s1, 0x64006400
	v_and_or_b32 v36, v36, s9, 0x64006400
	v_pk_fma_f16 v51, 0x2c00, v35, v30 op_sel_hi:[0,1,1]
	ds_read2_b32 v[34:35], v33 offset0:4 offset1:5
	v_pk_add_f16 v46, v27, v46
	v_pk_fma_f16 v49, 0x2c00, v36, v31 op_sel_hi:[0,1,1]
	v_lshrrev_b32_e32 v36, 8, v37
	v_and_or_b32 v37, v36, s1, 0x64006400
	v_and_or_b32 v36, v36, s9, 0x64006400
	v_pk_add_f16 v52, v26, v37
	v_pk_fma_f16 v53, 0x2c00, v36, v30 op_sel_hi:[0,1,1]
	s_waitcnt lgkmcnt(0)
	v_pk_fma_f16 v36, v38, v34, 0
	v_pk_fma_f16 v54, v39, v35, v36
	ds_read2_b32 v[36:37], v33 offset0:6 offset1:7
	s_waitcnt lgkmcnt(0)
	v_pk_fma_f16 v54, v40, v36, v54
	v_pk_fma_f16 v54, v41, v37, v54
	v_cvt_f32_f16_e32 v55, v54
	v_cvt_f32_f16_sdwa v54, v54 dst_sel:DWORD dst_unused:UNUSED_PAD src0_sel:WORD_1
	v_add_f32_e32 v54, v55, v54
	v_fmac_f32_e32 v17, v54, v21
	v_pk_fma_f16 v54, v44, v34, 0
	v_pk_fma_f16 v54, v42, v35, v54
	;; [unrolled: 1-line block ×4, first 2 shown]
	v_cvt_f32_f16_e32 v55, v54
	v_cvt_f32_f16_sdwa v54, v54 dst_sel:DWORD dst_unused:UNUSED_PAD src0_sel:WORD_1
	v_add_f32_e32 v54, v55, v54
	v_fmac_f32_e32 v18, v54, v22
	v_pk_fma_f16 v54, v47, v34, 0
	v_pk_fma_f16 v34, v50, v34, 0
	;; [unrolled: 1-line block ×8, first 2 shown]
	v_cvt_f32_f16_e32 v55, v54
	v_cvt_f32_f16_e32 v35, v34
	v_cvt_f32_f16_sdwa v34, v34 dst_sel:DWORD dst_unused:UNUSED_PAD src0_sel:WORD_1
	v_cvt_f32_f16_sdwa v54, v54 dst_sel:DWORD dst_unused:UNUSED_PAD src0_sel:WORD_1
	v_add_f32_e32 v34, v35, v34
	v_add_f32_e32 v54, v55, v54
	v_fmac_f32_e32 v15, v34, v24
	ds_read2_b32 v[34:35], v33 offset0:68 offset1:69
	v_fmac_f32_e32 v16, v54, v23
	s_waitcnt lgkmcnt(0)
	v_pk_fma_f16 v36, v38, v34, 0
	v_pk_fma_f16 v54, v39, v35, v36
	ds_read2_b32 v[36:37], v33 offset0:70 offset1:71
	s_waitcnt lgkmcnt(0)
	v_pk_fma_f16 v54, v40, v36, v54
	v_pk_fma_f16 v54, v41, v37, v54
	v_cvt_f32_f16_e32 v55, v54
	v_cvt_f32_f16_sdwa v54, v54 dst_sel:DWORD dst_unused:UNUSED_PAD src0_sel:WORD_1
	v_add_f32_e32 v54, v55, v54
	v_fmac_f32_e32 v13, v54, v21
	v_pk_fma_f16 v54, v44, v34, 0
	v_pk_fma_f16 v54, v42, v35, v54
	;; [unrolled: 1-line block ×4, first 2 shown]
	v_cvt_f32_f16_e32 v55, v54
	v_cvt_f32_f16_sdwa v54, v54 dst_sel:DWORD dst_unused:UNUSED_PAD src0_sel:WORD_1
	v_add_f32_e32 v54, v55, v54
	v_fmac_f32_e32 v12, v54, v22
	v_pk_fma_f16 v54, v47, v34, 0
	v_pk_fma_f16 v34, v50, v34, 0
	;; [unrolled: 1-line block ×8, first 2 shown]
	v_cvt_f32_f16_e32 v55, v54
	v_cvt_f32_f16_e32 v35, v34
	v_cvt_f32_f16_sdwa v34, v34 dst_sel:DWORD dst_unused:UNUSED_PAD src0_sel:WORD_1
	v_cvt_f32_f16_sdwa v54, v54 dst_sel:DWORD dst_unused:UNUSED_PAD src0_sel:WORD_1
	v_add_f32_e32 v34, v35, v34
	v_add_f32_e32 v54, v55, v54
	v_fmac_f32_e32 v10, v34, v24
	ds_read2_b32 v[34:35], v33 offset0:132 offset1:133
	v_fmac_f32_e32 v11, v54, v23
	s_waitcnt lgkmcnt(0)
	v_pk_fma_f16 v36, v38, v34, 0
	v_pk_fma_f16 v38, v39, v35, v36
	ds_read2_b32 v[36:37], v33 offset0:134 offset1:135
	s_waitcnt lgkmcnt(0)
	v_pk_fma_f16 v38, v40, v36, v38
	v_pk_fma_f16 v38, v41, v37, v38
	v_cvt_f32_f16_e32 v39, v38
	v_cvt_f32_f16_sdwa v38, v38 dst_sel:DWORD dst_unused:UNUSED_PAD src0_sel:WORD_1
	v_add_f32_e32 v38, v39, v38
	v_fmac_f32_e32 v8, v38, v21
	v_pk_fma_f16 v38, v44, v34, 0
	v_pk_fma_f16 v38, v42, v35, v38
	;; [unrolled: 1-line block ×4, first 2 shown]
	v_cvt_f32_f16_e32 v39, v38
	v_cvt_f32_f16_sdwa v38, v38 dst_sel:DWORD dst_unused:UNUSED_PAD src0_sel:WORD_1
	v_add_f32_e32 v38, v39, v38
	v_fmac_f32_e32 v7, v38, v22
	v_pk_fma_f16 v38, v47, v34, 0
	v_pk_fma_f16 v34, v50, v34, 0
	v_pk_fma_f16 v38, v48, v35, v38
	v_pk_fma_f16 v34, v51, v35, v34
	v_pk_fma_f16 v38, v46, v36, v38
	v_pk_fma_f16 v34, v52, v36, v34
	v_pk_fma_f16 v38, v49, v37, v38
	v_pk_fma_f16 v34, v53, v37, v34
	v_cvt_f32_f16_e32 v39, v38
	v_cvt_f32_f16_e32 v35, v34
	v_cvt_f32_f16_sdwa v34, v34 dst_sel:DWORD dst_unused:UNUSED_PAD src0_sel:WORD_1
	v_cvt_f32_f16_sdwa v38, v38 dst_sel:DWORD dst_unused:UNUSED_PAD src0_sel:WORD_1
	v_add_f32_e32 v34, v35, v34
	v_add_f32_e32 v38, v39, v38
	v_fmac_f32_e32 v9, v34, v24
	global_load_dwordx4 v[34:37], v[4:5], off
	v_fmac_f32_e32 v6, v38, v23
	v_add_co_u32 v4, vcc_lo, v4, s4
	v_add_co_ci_u32_e64 v5, null, s5, v5, vcc_lo
	v_add_co_u32 v2, vcc_lo, v2, s2
	v_add_co_ci_u32_e64 v3, null, s3, v3, vcc_lo
	s_waitcnt vmcnt(0)
	v_and_or_b32 v38, v34, s1, 0x64006400
	v_and_or_b32 v39, v34, s9, 0x64006400
	v_lshrrev_b32_e32 v34, 8, v34
	v_and_or_b32 v42, v35, s9, 0x64006400
	v_pk_add_f16 v38, v25, v38
	v_pk_fma_f16 v39, 0x2c00, v39, v29 op_sel_hi:[0,1,1]
	v_and_or_b32 v40, v34, s1, 0x64006400
	v_and_or_b32 v34, v34, s9, 0x64006400
	v_pk_fma_f16 v42, 0x2c00, v42, v32 op_sel_hi:[0,1,1]
	v_pk_add_f16 v40, v25, v40
	v_pk_fma_f16 v41, 0x2c00, v34, v29 op_sel_hi:[0,1,1]
	v_and_or_b32 v34, v35, s1, 0x64006400
	v_lshrrev_b32_e32 v35, 8, v35
	v_pk_add_f16 v44, v28, v34
	v_and_or_b32 v43, v35, s1, 0x64006400
	v_and_or_b32 v35, v35, s9, 0x64006400
	;; [unrolled: 1-line block ×3, first 2 shown]
	v_pk_add_f16 v43, v28, v43
	v_pk_fma_f16 v45, 0x2c00, v35, v32 op_sel_hi:[0,1,1]
	v_and_or_b32 v35, v36, s9, 0x64006400
	v_pk_add_f16 v47, v27, v34
	v_and_or_b32 v34, v37, s1, 0x64006400
	v_lshrrev_b32_e32 v36, 8, v36
	v_pk_fma_f16 v48, 0x2c00, v35, v31 op_sel_hi:[0,1,1]
	v_and_or_b32 v35, v37, s9, 0x64006400
	v_pk_add_f16 v50, v26, v34
	v_and_or_b32 v46, v36, s1, 0x64006400
	v_and_or_b32 v36, v36, s9, 0x64006400
	v_pk_fma_f16 v51, 0x2c00, v35, v30 op_sel_hi:[0,1,1]
	ds_read2_b32 v[34:35], v33 offset0:8 offset1:9
	v_pk_add_f16 v46, v27, v46
	v_pk_fma_f16 v49, 0x2c00, v36, v31 op_sel_hi:[0,1,1]
	v_lshrrev_b32_e32 v36, 8, v37
	v_and_or_b32 v37, v36, s1, 0x64006400
	v_and_or_b32 v36, v36, s9, 0x64006400
	v_pk_add_f16 v52, v26, v37
	v_pk_fma_f16 v53, 0x2c00, v36, v30 op_sel_hi:[0,1,1]
	s_waitcnt lgkmcnt(0)
	v_pk_fma_f16 v36, v38, v34, 0
	v_pk_fma_f16 v54, v39, v35, v36
	ds_read2_b32 v[36:37], v33 offset0:10 offset1:11
	s_waitcnt lgkmcnt(0)
	v_pk_fma_f16 v54, v40, v36, v54
	v_pk_fma_f16 v54, v41, v37, v54
	v_cvt_f32_f16_e32 v55, v54
	v_cvt_f32_f16_sdwa v54, v54 dst_sel:DWORD dst_unused:UNUSED_PAD src0_sel:WORD_1
	v_add_f32_e32 v54, v55, v54
	v_fmac_f32_e32 v17, v54, v21
	v_pk_fma_f16 v54, v44, v34, 0
	v_pk_fma_f16 v54, v42, v35, v54
	;; [unrolled: 1-line block ×4, first 2 shown]
	v_cvt_f32_f16_e32 v55, v54
	v_cvt_f32_f16_sdwa v54, v54 dst_sel:DWORD dst_unused:UNUSED_PAD src0_sel:WORD_1
	v_add_f32_e32 v54, v55, v54
	v_fmac_f32_e32 v18, v54, v22
	v_pk_fma_f16 v54, v47, v34, 0
	v_pk_fma_f16 v34, v50, v34, 0
	;; [unrolled: 1-line block ×8, first 2 shown]
	v_cvt_f32_f16_e32 v55, v54
	v_cvt_f32_f16_e32 v35, v34
	v_cvt_f32_f16_sdwa v34, v34 dst_sel:DWORD dst_unused:UNUSED_PAD src0_sel:WORD_1
	v_cvt_f32_f16_sdwa v54, v54 dst_sel:DWORD dst_unused:UNUSED_PAD src0_sel:WORD_1
	v_add_f32_e32 v34, v35, v34
	v_add_f32_e32 v54, v55, v54
	v_fmac_f32_e32 v15, v34, v24
	ds_read2_b32 v[34:35], v33 offset0:72 offset1:73
	v_fmac_f32_e32 v16, v54, v23
	s_waitcnt lgkmcnt(0)
	v_pk_fma_f16 v36, v38, v34, 0
	v_pk_fma_f16 v54, v39, v35, v36
	ds_read2_b32 v[36:37], v33 offset0:74 offset1:75
	s_waitcnt lgkmcnt(0)
	v_pk_fma_f16 v54, v40, v36, v54
	v_pk_fma_f16 v54, v41, v37, v54
	v_cvt_f32_f16_e32 v55, v54
	v_cvt_f32_f16_sdwa v54, v54 dst_sel:DWORD dst_unused:UNUSED_PAD src0_sel:WORD_1
	v_add_f32_e32 v54, v55, v54
	v_fmac_f32_e32 v13, v54, v21
	v_pk_fma_f16 v54, v44, v34, 0
	v_pk_fma_f16 v54, v42, v35, v54
	;; [unrolled: 1-line block ×4, first 2 shown]
	v_cvt_f32_f16_e32 v55, v54
	v_cvt_f32_f16_sdwa v54, v54 dst_sel:DWORD dst_unused:UNUSED_PAD src0_sel:WORD_1
	v_add_f32_e32 v54, v55, v54
	v_fmac_f32_e32 v12, v54, v22
	v_pk_fma_f16 v54, v47, v34, 0
	v_pk_fma_f16 v34, v50, v34, 0
	;; [unrolled: 1-line block ×8, first 2 shown]
	v_cvt_f32_f16_e32 v55, v54
	v_cvt_f32_f16_e32 v35, v34
	v_cvt_f32_f16_sdwa v34, v34 dst_sel:DWORD dst_unused:UNUSED_PAD src0_sel:WORD_1
	v_cvt_f32_f16_sdwa v54, v54 dst_sel:DWORD dst_unused:UNUSED_PAD src0_sel:WORD_1
	v_add_f32_e32 v34, v35, v34
	v_add_f32_e32 v54, v55, v54
	v_fmac_f32_e32 v10, v34, v24
	ds_read2_b32 v[34:35], v33 offset0:136 offset1:137
	v_fmac_f32_e32 v11, v54, v23
	s_waitcnt lgkmcnt(0)
	v_pk_fma_f16 v36, v38, v34, 0
	v_pk_fma_f16 v38, v39, v35, v36
	ds_read2_b32 v[36:37], v33 offset0:138 offset1:139
	s_waitcnt lgkmcnt(0)
	v_pk_fma_f16 v38, v40, v36, v38
	v_pk_fma_f16 v38, v41, v37, v38
	v_cvt_f32_f16_e32 v39, v38
	v_cvt_f32_f16_sdwa v38, v38 dst_sel:DWORD dst_unused:UNUSED_PAD src0_sel:WORD_1
	v_add_f32_e32 v38, v39, v38
	v_fmac_f32_e32 v8, v38, v21
	v_pk_fma_f16 v38, v44, v34, 0
	v_pk_fma_f16 v38, v42, v35, v38
	;; [unrolled: 1-line block ×4, first 2 shown]
	v_cvt_f32_f16_e32 v39, v38
	v_cvt_f32_f16_sdwa v38, v38 dst_sel:DWORD dst_unused:UNUSED_PAD src0_sel:WORD_1
	v_add_f32_e32 v38, v39, v38
	v_fmac_f32_e32 v7, v38, v22
	v_pk_fma_f16 v38, v47, v34, 0
	v_pk_fma_f16 v34, v50, v34, 0
	;; [unrolled: 1-line block ×7, first 2 shown]
	global_load_dwordx4 v[47:50], v[4:5], off
	v_pk_fma_f16 v34, v53, v37, v34
	v_cvt_f32_f16_e32 v39, v38
	v_cvt_f32_f16_sdwa v38, v38 dst_sel:DWORD dst_unused:UNUSED_PAD src0_sel:WORD_1
	v_cvt_f32_f16_e32 v35, v34
	v_cvt_f32_f16_sdwa v34, v34 dst_sel:DWORD dst_unused:UNUSED_PAD src0_sel:WORD_1
	v_add_f32_e32 v38, v39, v38
	v_add_f32_e32 v34, v35, v34
	v_fmac_f32_e32 v6, v38, v23
	v_fmac_f32_e32 v9, v34, v24
	s_waitcnt vmcnt(0)
	v_lshrrev_b32_e32 v34, 8, v47
	v_and_or_b32 v4, v47, s1, 0x64006400
	v_and_or_b32 v5, v47, s9, 0x64006400
	;; [unrolled: 1-line block ×4, first 2 shown]
	v_pk_add_f16 v46, v25, v4
	v_pk_fma_f16 v47, 0x2c00, v5, v29 op_sel_hi:[0,1,1]
	v_and_or_b32 v4, v48, s1, 0x64006400
	v_pk_add_f16 v44, v25, v35
	v_pk_fma_f16 v45, 0x2c00, v34, v29 op_sel_hi:[0,1,1]
	v_lshrrev_b32_e32 v34, 8, v48
	v_and_or_b32 v5, v48, s9, 0x64006400
	v_pk_add_f16 v40, v28, v4
	v_and_or_b32 v4, v49, s1, 0x64006400
	v_and_or_b32 v35, v34, s1, 0x64006400
	;; [unrolled: 1-line block ×3, first 2 shown]
	v_pk_fma_f16 v41, 0x2c00, v5, v32 op_sel_hi:[0,1,1]
	v_and_or_b32 v5, v49, s9, 0x64006400
	v_pk_add_f16 v36, v27, v4
	v_pk_add_f16 v42, v28, v35
	v_pk_fma_f16 v43, 0x2c00, v34, v32 op_sel_hi:[0,1,1]
	v_lshrrev_b32_e32 v34, 8, v49
	v_pk_fma_f16 v37, 0x2c00, v5, v31 op_sel_hi:[0,1,1]
	v_and_or_b32 v4, v50, s1, 0x64006400
	v_and_or_b32 v5, v50, s9, 0x64006400
	v_and_or_b32 v35, v34, s1, 0x64006400
	v_and_or_b32 v34, v34, s9, 0x64006400
	v_pk_add_f16 v38, v27, v35
	v_pk_fma_f16 v39, 0x2c00, v34, v31 op_sel_hi:[0,1,1]
	v_lshrrev_b32_e32 v34, 8, v50
	v_pk_add_f16 v35, v26, v4
	v_and_or_b32 v48, v34, s1, 0x64006400
	v_and_or_b32 v49, v34, s9, 0x64006400
	v_pk_fma_f16 v34, 0x2c00, v5, v30 op_sel_hi:[0,1,1]
	v_pk_add_f16 v5, v26, v48
	v_pk_fma_f16 v4, 0x2c00, v49, v30 op_sel_hi:[0,1,1]
	ds_read2_b32 v[48:49], v33 offset0:12 offset1:13
	s_waitcnt lgkmcnt(0)
	v_pk_fma_f16 v50, v46, v48, 0
	v_pk_fma_f16 v52, v47, v49, v50
	ds_read2_b32 v[50:51], v33 offset0:14 offset1:15
	s_waitcnt lgkmcnt(0)
	v_pk_fma_f16 v52, v44, v50, v52
	v_pk_fma_f16 v52, v45, v51, v52
	v_cvt_f32_f16_e32 v53, v52
	v_cvt_f32_f16_sdwa v52, v52 dst_sel:DWORD dst_unused:UNUSED_PAD src0_sel:WORD_1
	v_add_f32_e32 v52, v53, v52
	v_fmac_f32_e32 v17, v52, v21
	v_pk_fma_f16 v52, v40, v48, 0
	v_pk_fma_f16 v52, v41, v49, v52
	;; [unrolled: 1-line block ×4, first 2 shown]
	v_cvt_f32_f16_e32 v53, v52
	v_cvt_f32_f16_sdwa v52, v52 dst_sel:DWORD dst_unused:UNUSED_PAD src0_sel:WORD_1
	v_add_f32_e32 v52, v53, v52
	v_fmac_f32_e32 v18, v52, v22
	v_pk_fma_f16 v52, v36, v48, 0
	v_pk_fma_f16 v48, v35, v48, 0
	;; [unrolled: 1-line block ×8, first 2 shown]
	v_cvt_f32_f16_e32 v53, v52
	v_cvt_f32_f16_e32 v49, v48
	v_cvt_f32_f16_sdwa v48, v48 dst_sel:DWORD dst_unused:UNUSED_PAD src0_sel:WORD_1
	v_cvt_f32_f16_sdwa v52, v52 dst_sel:DWORD dst_unused:UNUSED_PAD src0_sel:WORD_1
	v_add_f32_e32 v48, v49, v48
	v_add_f32_e32 v52, v53, v52
	v_fmac_f32_e32 v15, v48, v24
	ds_read2_b32 v[48:49], v33 offset0:76 offset1:77
	v_fmac_f32_e32 v16, v52, v23
	s_waitcnt lgkmcnt(0)
	v_pk_fma_f16 v50, v46, v48, 0
	v_pk_fma_f16 v52, v47, v49, v50
	ds_read2_b32 v[50:51], v33 offset0:78 offset1:79
	s_waitcnt lgkmcnt(0)
	v_pk_fma_f16 v52, v44, v50, v52
	v_pk_fma_f16 v52, v45, v51, v52
	v_cvt_f32_f16_e32 v53, v52
	v_cvt_f32_f16_sdwa v52, v52 dst_sel:DWORD dst_unused:UNUSED_PAD src0_sel:WORD_1
	v_add_f32_e32 v52, v53, v52
	v_fmac_f32_e32 v13, v52, v21
	v_pk_fma_f16 v52, v40, v48, 0
	v_pk_fma_f16 v52, v41, v49, v52
	;; [unrolled: 1-line block ×4, first 2 shown]
	v_cvt_f32_f16_e32 v53, v52
	v_cvt_f32_f16_sdwa v52, v52 dst_sel:DWORD dst_unused:UNUSED_PAD src0_sel:WORD_1
	v_add_f32_e32 v52, v53, v52
	v_fmac_f32_e32 v12, v52, v22
	v_pk_fma_f16 v52, v36, v48, 0
	v_pk_fma_f16 v48, v35, v48, 0
	;; [unrolled: 1-line block ×8, first 2 shown]
	v_cvt_f32_f16_e32 v53, v52
	v_cvt_f32_f16_e32 v49, v48
	v_cvt_f32_f16_sdwa v48, v48 dst_sel:DWORD dst_unused:UNUSED_PAD src0_sel:WORD_1
	v_cvt_f32_f16_sdwa v52, v52 dst_sel:DWORD dst_unused:UNUSED_PAD src0_sel:WORD_1
	v_add_f32_e32 v48, v49, v48
	v_add_f32_e32 v52, v53, v52
	v_fmac_f32_e32 v10, v48, v24
	ds_read2_b32 v[48:49], v33 offset0:140 offset1:141
	v_fmac_f32_e32 v11, v52, v23
	s_waitcnt lgkmcnt(0)
	v_pk_fma_f16 v46, v46, v48, 0
	v_pk_fma_f16 v50, v47, v49, v46
	ds_read2_b32 v[46:47], v33 offset0:142 offset1:143
	s_waitcnt lgkmcnt(0)
	v_pk_fma_f16 v33, v44, v46, v50
	v_pk_fma_f16 v33, v45, v47, v33
	v_cvt_f32_f16_e32 v44, v33
	v_cvt_f32_f16_sdwa v33, v33 dst_sel:DWORD dst_unused:UNUSED_PAD src0_sel:WORD_1
	v_add_f32_e32 v33, v44, v33
	v_fmac_f32_e32 v8, v33, v21
	v_pk_fma_f16 v33, v40, v48, 0
	v_pk_fma_f16 v33, v41, v49, v33
	v_pk_fma_f16 v33, v42, v46, v33
	v_pk_fma_f16 v33, v43, v47, v33
	v_cvt_f32_f16_e32 v40, v33
	v_cvt_f32_f16_sdwa v33, v33 dst_sel:DWORD dst_unused:UNUSED_PAD src0_sel:WORD_1
	v_add_f32_e32 v33, v40, v33
	v_fmac_f32_e32 v7, v33, v22
	v_pk_fma_f16 v33, v36, v48, 0
	v_pk_fma_f16 v33, v37, v49, v33
	;; [unrolled: 8-line block ×3, first 2 shown]
	v_pk_fma_f16 v5, v5, v46, v33
	v_pk_fma_f16 v4, v4, v47, v5
	v_cvt_f32_f16_e32 v5, v4
	v_cvt_f32_f16_sdwa v4, v4 dst_sel:DWORD dst_unused:UNUSED_PAD src0_sel:WORD_1
	v_add_f32_e32 v4, v5, v4
	v_fmac_f32_e32 v9, v4, v24
	s_cbranch_scc1 .LBB25_14
.LBB25_12:                              ; =>This Inner Loop Header: Depth=1
	s_cmp_lg_u32 s18, s8
	s_cbranch_scc1 .LBB25_11
; %bb.13:                               ;   in Loop: Header=BB25_12 Depth=1
	s_add_i32 s16, s16, 1
	s_add_i32 s8, s8, s6
	s_mul_i32 s21, s16, s0
	s_ashr_i32 s22, s21, 31
	v_add_nc_u32_e32 v21, s21, v1
	s_lshr_b32 s22, s22, 29
	s_add_i32 s22, s21, s22
	v_ashrrev_i32_e32 v22, 31, v21
	s_ashr_i32 s22, s22, 3
	v_add_nc_u32_e32 v4, s22, v14
	v_lshlrev_b64 v[21:22], 1, v[21:22]
	v_ashrrev_i32_e32 v5, 31, v4
	v_lshlrev_b64 v[4:5], 2, v[4:5]
	v_add_co_u32 v4, vcc_lo, s10, v4
	v_add_co_ci_u32_e64 v5, null, s11, v5, vcc_lo
	v_add_co_u32 v21, vcc_lo, s12, v21
	v_add_co_ci_u32_e64 v22, null, s13, v22, vcc_lo
	global_load_dword v23, v[4:5], off
	global_load_dwordx2 v[4:5], v[21:22], off
	s_waitcnt vmcnt(1)
	v_lshrrev_b32_e32 v24, v19, v23
	s_waitcnt vmcnt(0)
	v_cvt_f32_f16_e32 v21, v4
	v_cvt_f32_f16_sdwa v22, v4 dst_sel:DWORD dst_unused:UNUSED_PAD src0_sel:WORD_1
	v_bfe_u32 v4, v23, v19, 4
	v_cvt_f32_f16_e32 v23, v5
	v_bfe_u32 v25, v24, 4, 4
	v_bfe_u32 v26, v24, 8, 4
	;; [unrolled: 1-line block ×3, first 2 shown]
	v_add_nc_u32_e32 v4, v4, v20
	v_cvt_f32_f16_sdwa v24, v5 dst_sel:DWORD dst_unused:UNUSED_PAD src0_sel:WORD_1
	v_add_nc_u32_e32 v5, v25, v20
	v_add_nc_u32_e32 v26, v26, v20
	;; [unrolled: 1-line block ×3, first 2 shown]
	v_cvt_f32_ubyte0_e32 v27, v4
	v_mad_u32_u24 v25, 0x10001, v4, s20
	v_cvt_f32_ubyte0_e32 v4, v5
	v_cvt_f32_ubyte0_e32 v30, v26
	;; [unrolled: 1-line block ×3, first 2 shown]
	v_cvt_f16_f32_e32 v32, v27
	v_mad_u32_u24 v28, 0x10001, v5, s20
	v_cvt_f16_f32_e32 v4, v4
	v_cvt_f16_f32_e32 v5, v30
	;; [unrolled: 1-line block ×3, first 2 shown]
	v_sub_f16_e32 v31, 0xd400, v32
	v_mad_u32_u24 v27, 0x10001, v26, s20
	v_sub_f16_e32 v4, 0xd400, v4
	v_sub_f16_e32 v5, 0xd400, v5
	;; [unrolled: 1-line block ×3, first 2 shown]
	v_mad_u32_u24 v26, 0x10001, v29, s20
	v_mul_u32_u24_sdwa v29, v31, v0 dst_sel:DWORD dst_unused:UNUSED_PAD src0_sel:WORD_0 src1_sel:DWORD
	v_mul_u32_u24_sdwa v32, v4, v0 dst_sel:DWORD dst_unused:UNUSED_PAD src0_sel:WORD_0 src1_sel:DWORD
	;; [unrolled: 1-line block ×4, first 2 shown]
	s_branch .LBB25_11
.LBB25_14:
	v_mad_u64_u32 v[0:1], null, s7, s0, v[1:2]
	v_cvt_f16_f32_e32 v3, v17
	v_cvt_f16_f32_e32 v5, v18
	s_mov_b32 s1, 0
	v_pack_b32_f16 v5, v3, v5
	v_ashrrev_i32_e32 v1, 31, v0
	v_lshlrev_b64 v[1:2], 1, v[0:1]
	v_add_co_u32 v1, vcc_lo, s14, v1
	v_add_co_ci_u32_e64 v2, null, s15, v2, vcc_lo
	global_load_dword v4, v[1:2], off
.LBB25_15:                              ; =>This Inner Loop Header: Depth=1
	s_waitcnt vmcnt(0)
	v_pk_add_f16 v3, v5, v4
	global_atomic_cmpswap v3, v[1:2], v[3:4], off glc
	s_waitcnt vmcnt(0)
	v_cmp_eq_u32_e32 vcc_lo, v4, v3
	v_mov_b32_e32 v4, v3
	s_or_b32 s1, vcc_lo, s1
	s_andn2_b32 exec_lo, exec_lo, s1
	s_cbranch_execnz .LBB25_15
; %bb.16:
	s_or_b32 exec_lo, exec_lo, s1
	global_load_dword v4, v[1:2], off offset:4
	v_cvt_f16_f32_e32 v3, v16
	v_cvt_f16_f32_e32 v5, v15
	s_mov_b32 s1, 0
	v_pack_b32_f16 v5, v3, v5
.LBB25_17:                              ; =>This Inner Loop Header: Depth=1
	s_waitcnt vmcnt(0)
	v_pk_add_f16 v3, v5, v4
	global_atomic_cmpswap v3, v[1:2], v[3:4], off offset:4 glc
	s_waitcnt vmcnt(0)
	v_cmp_eq_u32_e32 vcc_lo, v4, v3
	v_mov_b32_e32 v4, v3
	s_or_b32 s1, vcc_lo, s1
	s_andn2_b32 exec_lo, exec_lo, s1
	s_cbranch_execnz .LBB25_17
; %bb.18:
	s_or_b32 exec_lo, exec_lo, s1
	v_add_nc_u32_e32 v0, s0, v0
	v_cvt_f16_f32_e32 v3, v13
	v_cvt_f16_f32_e32 v5, v12
	s_mov_b32 s1, 0
	v_ashrrev_i32_e32 v1, 31, v0
	v_pack_b32_f16 v5, v3, v5
	v_lshlrev_b64 v[1:2], 1, v[0:1]
	v_add_co_u32 v1, vcc_lo, s14, v1
	v_add_co_ci_u32_e64 v2, null, s15, v2, vcc_lo
	global_load_dword v4, v[1:2], off
.LBB25_19:                              ; =>This Inner Loop Header: Depth=1
	s_waitcnt vmcnt(0)
	v_pk_add_f16 v3, v5, v4
	global_atomic_cmpswap v3, v[1:2], v[3:4], off glc
	s_waitcnt vmcnt(0)
	v_cmp_eq_u32_e32 vcc_lo, v4, v3
	v_mov_b32_e32 v4, v3
	s_or_b32 s1, vcc_lo, s1
	s_andn2_b32 exec_lo, exec_lo, s1
	s_cbranch_execnz .LBB25_19
; %bb.20:
	s_or_b32 exec_lo, exec_lo, s1
	global_load_dword v4, v[1:2], off offset:4
	v_cvt_f16_f32_e32 v3, v11
	v_cvt_f16_f32_e32 v5, v10
	s_mov_b32 s1, 0
	v_pack_b32_f16 v5, v3, v5
.LBB25_21:                              ; =>This Inner Loop Header: Depth=1
	s_waitcnt vmcnt(0)
	v_pk_add_f16 v3, v5, v4
	global_atomic_cmpswap v3, v[1:2], v[3:4], off offset:4 glc
	s_waitcnt vmcnt(0)
	v_cmp_eq_u32_e32 vcc_lo, v4, v3
	v_mov_b32_e32 v4, v3
	s_or_b32 s1, vcc_lo, s1
	s_andn2_b32 exec_lo, exec_lo, s1
	s_cbranch_execnz .LBB25_21
; %bb.22:
	s_or_b32 exec_lo, exec_lo, s1
	v_add_nc_u32_e32 v0, s0, v0
	v_cvt_f16_f32_e32 v2, v8
	v_cvt_f16_f32_e32 v4, v7
	s_mov_b32 s0, 0
	v_ashrrev_i32_e32 v1, 31, v0
	v_pack_b32_f16 v4, v2, v4
	v_lshlrev_b64 v[0:1], 1, v[0:1]
	v_add_co_u32 v0, vcc_lo, s14, v0
	v_add_co_ci_u32_e64 v1, null, s15, v1, vcc_lo
	global_load_dword v3, v[0:1], off
.LBB25_23:                              ; =>This Inner Loop Header: Depth=1
	s_waitcnt vmcnt(0)
	v_pk_add_f16 v2, v4, v3
	global_atomic_cmpswap v2, v[0:1], v[2:3], off glc
	s_waitcnt vmcnt(0)
	v_cmp_eq_u32_e32 vcc_lo, v3, v2
	v_mov_b32_e32 v3, v2
	s_or_b32 s0, vcc_lo, s0
	s_andn2_b32 exec_lo, exec_lo, s0
	s_cbranch_execnz .LBB25_23
; %bb.24:
	s_or_b32 exec_lo, exec_lo, s0
	global_load_dword v3, v[0:1], off offset:4
	v_cvt_f16_f32_e32 v2, v6
	v_cvt_f16_f32_e32 v4, v9
	s_mov_b32 s0, 0
	v_pack_b32_f16 v4, v2, v4
.LBB25_25:                              ; =>This Inner Loop Header: Depth=1
	s_waitcnt vmcnt(0)
	v_pk_add_f16 v2, v4, v3
	global_atomic_cmpswap v2, v[0:1], v[2:3], off offset:4 glc
	s_waitcnt vmcnt(0)
	v_cmp_eq_u32_e32 vcc_lo, v3, v2
	v_mov_b32_e32 v3, v2
	s_or_b32 s0, vcc_lo, s0
	s_andn2_b32 exec_lo, exec_lo, s0
	s_cbranch_execnz .LBB25_25
.LBB25_26:
	s_endpgm
	.section	.rodata,"a",@progbits
	.p2align	6, 0x0
	.amdhsa_kernel _ZN4vllm4gptq33gemm_half_q_half_gptq_4bit_kernelILb1ELi3EEEvPK6__halfPKjS6_S4_PS2_iiiibPKi
		.amdhsa_group_segment_fixed_size 768
		.amdhsa_private_segment_fixed_size 0
		.amdhsa_kernarg_size 72
		.amdhsa_user_sgpr_count 6
		.amdhsa_user_sgpr_private_segment_buffer 1
		.amdhsa_user_sgpr_dispatch_ptr 0
		.amdhsa_user_sgpr_queue_ptr 0
		.amdhsa_user_sgpr_kernarg_segment_ptr 1
		.amdhsa_user_sgpr_dispatch_id 0
		.amdhsa_user_sgpr_flat_scratch_init 0
		.amdhsa_user_sgpr_private_segment_size 0
		.amdhsa_wavefront_size32 1
		.amdhsa_uses_dynamic_stack 0
		.amdhsa_system_sgpr_private_segment_wavefront_offset 0
		.amdhsa_system_sgpr_workgroup_id_x 1
		.amdhsa_system_sgpr_workgroup_id_y 1
		.amdhsa_system_sgpr_workgroup_id_z 1
		.amdhsa_system_sgpr_workgroup_info 0
		.amdhsa_system_vgpr_workitem_id 0
		.amdhsa_next_free_vgpr 56
		.amdhsa_next_free_sgpr 24
		.amdhsa_reserve_vcc 1
		.amdhsa_reserve_flat_scratch 0
		.amdhsa_float_round_mode_32 0
		.amdhsa_float_round_mode_16_64 0
		.amdhsa_float_denorm_mode_32 3
		.amdhsa_float_denorm_mode_16_64 3
		.amdhsa_dx10_clamp 1
		.amdhsa_ieee_mode 1
		.amdhsa_fp16_overflow 0
		.amdhsa_workgroup_processor_mode 1
		.amdhsa_memory_ordered 1
		.amdhsa_forward_progress 1
		.amdhsa_shared_vgpr_count 0
		.amdhsa_exception_fp_ieee_invalid_op 0
		.amdhsa_exception_fp_denorm_src 0
		.amdhsa_exception_fp_ieee_div_zero 0
		.amdhsa_exception_fp_ieee_overflow 0
		.amdhsa_exception_fp_ieee_underflow 0
		.amdhsa_exception_fp_ieee_inexact 0
		.amdhsa_exception_int_div_zero 0
	.end_amdhsa_kernel
	.section	.text._ZN4vllm4gptq33gemm_half_q_half_gptq_4bit_kernelILb1ELi3EEEvPK6__halfPKjS6_S4_PS2_iiiibPKi,"axG",@progbits,_ZN4vllm4gptq33gemm_half_q_half_gptq_4bit_kernelILb1ELi3EEEvPK6__halfPKjS6_S4_PS2_iiiibPKi,comdat
.Lfunc_end25:
	.size	_ZN4vllm4gptq33gemm_half_q_half_gptq_4bit_kernelILb1ELi3EEEvPK6__halfPKjS6_S4_PS2_iiiibPKi, .Lfunc_end25-_ZN4vllm4gptq33gemm_half_q_half_gptq_4bit_kernelILb1ELi3EEEvPK6__halfPKjS6_S4_PS2_iiiibPKi
                                        ; -- End function
	.set _ZN4vllm4gptq33gemm_half_q_half_gptq_4bit_kernelILb1ELi3EEEvPK6__halfPKjS6_S4_PS2_iiiibPKi.num_vgpr, 56
	.set _ZN4vllm4gptq33gemm_half_q_half_gptq_4bit_kernelILb1ELi3EEEvPK6__halfPKjS6_S4_PS2_iiiibPKi.num_agpr, 0
	.set _ZN4vllm4gptq33gemm_half_q_half_gptq_4bit_kernelILb1ELi3EEEvPK6__halfPKjS6_S4_PS2_iiiibPKi.numbered_sgpr, 24
	.set _ZN4vllm4gptq33gemm_half_q_half_gptq_4bit_kernelILb1ELi3EEEvPK6__halfPKjS6_S4_PS2_iiiibPKi.num_named_barrier, 0
	.set _ZN4vllm4gptq33gemm_half_q_half_gptq_4bit_kernelILb1ELi3EEEvPK6__halfPKjS6_S4_PS2_iiiibPKi.private_seg_size, 0
	.set _ZN4vllm4gptq33gemm_half_q_half_gptq_4bit_kernelILb1ELi3EEEvPK6__halfPKjS6_S4_PS2_iiiibPKi.uses_vcc, 1
	.set _ZN4vllm4gptq33gemm_half_q_half_gptq_4bit_kernelILb1ELi3EEEvPK6__halfPKjS6_S4_PS2_iiiibPKi.uses_flat_scratch, 0
	.set _ZN4vllm4gptq33gemm_half_q_half_gptq_4bit_kernelILb1ELi3EEEvPK6__halfPKjS6_S4_PS2_iiiibPKi.has_dyn_sized_stack, 0
	.set _ZN4vllm4gptq33gemm_half_q_half_gptq_4bit_kernelILb1ELi3EEEvPK6__halfPKjS6_S4_PS2_iiiibPKi.has_recursion, 0
	.set _ZN4vllm4gptq33gemm_half_q_half_gptq_4bit_kernelILb1ELi3EEEvPK6__halfPKjS6_S4_PS2_iiiibPKi.has_indirect_call, 0
	.section	.AMDGPU.csdata,"",@progbits
; Kernel info:
; codeLenInByte = 6548
; TotalNumSgprs: 26
; NumVgprs: 56
; ScratchSize: 0
; MemoryBound: 0
; FloatMode: 240
; IeeeMode: 1
; LDSByteSize: 768 bytes/workgroup (compile time only)
; SGPRBlocks: 0
; VGPRBlocks: 6
; NumSGPRsForWavesPerEU: 26
; NumVGPRsForWavesPerEU: 56
; Occupancy: 16
; WaveLimiterHint : 0
; COMPUTE_PGM_RSRC2:SCRATCH_EN: 0
; COMPUTE_PGM_RSRC2:USER_SGPR: 6
; COMPUTE_PGM_RSRC2:TRAP_HANDLER: 0
; COMPUTE_PGM_RSRC2:TGID_X_EN: 1
; COMPUTE_PGM_RSRC2:TGID_Y_EN: 1
; COMPUTE_PGM_RSRC2:TGID_Z_EN: 1
; COMPUTE_PGM_RSRC2:TIDIG_COMP_CNT: 0
	.section	.text._ZN4vllm4gptq33gemm_half_q_half_gptq_8bit_kernelILb1ELi3EEEvPK6__halfPKjS6_S4_PS2_iiiibPKi,"axG",@progbits,_ZN4vllm4gptq33gemm_half_q_half_gptq_8bit_kernelILb1ELi3EEEvPK6__halfPKjS6_S4_PS2_iiiibPKi,comdat
	.protected	_ZN4vllm4gptq33gemm_half_q_half_gptq_8bit_kernelILb1ELi3EEEvPK6__halfPKjS6_S4_PS2_iiiibPKi ; -- Begin function _ZN4vllm4gptq33gemm_half_q_half_gptq_8bit_kernelILb1ELi3EEEvPK6__halfPKjS6_S4_PS2_iiiibPKi
	.globl	_ZN4vllm4gptq33gemm_half_q_half_gptq_8bit_kernelILb1ELi3EEEvPK6__halfPKjS6_S4_PS2_iiiibPKi
	.p2align	8
	.type	_ZN4vllm4gptq33gemm_half_q_half_gptq_8bit_kernelILb1ELi3EEEvPK6__halfPKjS6_S4_PS2_iiiibPKi,@function
_ZN4vllm4gptq33gemm_half_q_half_gptq_8bit_kernelILb1ELi3EEEvPK6__halfPKjS6_S4_PS2_iiiibPKi: ; @_ZN4vllm4gptq33gemm_half_q_half_gptq_8bit_kernelILb1ELi3EEEvPK6__halfPKjS6_S4_PS2_iiiibPKi
; %bb.0:
	s_load_dwordx4 s[0:3], s[4:5], 0x2c
	s_lshl_b32 s18, s8, 7
	s_mul_i32 s7, s7, 3
	s_add_i32 s8, s18, 0x80
	s_mov_b32 s20, exec_lo
	v_cvt_f64_u32_e32 v[1:2], s8
	s_load_dwordx8 s[8:15], s[4:5], 0x8
	s_waitcnt lgkmcnt(0)
	v_cvt_f64_i32_e32 v[3:4], s1
	v_min_f64 v[1:2], v[1:2], v[3:4]
	v_cvt_i32_f64_e32 v2, v[1:2]
	v_add_nc_u32_e32 v1, s18, v0
	v_readfirstlane_b32 s19, v2
	v_cmpx_lt_u32_e64 v1, v2
	s_cbranch_execz .LBB26_8
; %bb.1:
	s_clause 0x1
	s_load_dwordx2 s[16:17], s[4:5], 0x40
	s_load_dwordx2 s[4:5], s[4:5], 0x0
	v_mov_b32_e32 v2, 0
	v_lshlrev_b64 v[3:4], 2, v[1:2]
	v_mov_b32_e32 v6, v2
	v_mov_b32_e32 v5, v1
	s_waitcnt lgkmcnt(0)
	v_add_co_u32 v3, vcc_lo, s16, v3
	v_add_co_ci_u32_e64 v4, null, s17, v4, vcc_lo
	s_cmp_lg_u64 s[16:17], 0
	s_cselect_b32 s21, -1, 0
	s_cmp_eq_u64 s[16:17], 0
	s_cbranch_scc1 .LBB26_3
; %bb.2:
	global_load_dword v5, v[3:4], off
	s_waitcnt vmcnt(0)
	v_ashrrev_i32_e32 v6, 31, v5
.LBB26_3:
	s_mul_i32 s16, s7, s1
	v_lshlrev_b64 v[5:6], 1, v[5:6]
	s_ashr_i32 s17, s16, 31
	v_cndmask_b32_e64 v8, 0, 1, s21
	s_lshl_b64 s[22:23], s[16:17], 1
	v_lshlrev_b32_e32 v7, 1, v0
	s_add_u32 s17, s4, s22
	s_addc_u32 s22, s5, s23
	v_add_co_u32 v5, vcc_lo, s17, v5
	v_add_co_ci_u32_e64 v6, null, s22, v6, vcc_lo
	s_andn2_b32 vcc_lo, exec_lo, s21
	global_load_ushort v9, v[5:6], off
	v_mov_b32_e32 v6, v2
	v_mov_b32_e32 v5, v1
	s_waitcnt vmcnt(0)
	ds_write_b16 v7, v9
	s_cbranch_vccnz .LBB26_5
; %bb.4:
	global_load_dword v5, v[3:4], off
	s_waitcnt vmcnt(0)
	v_ashrrev_i32_e32 v6, 31, v5
.LBB26_5:
	s_add_i32 s16, s16, s1
	v_lshlrev_b64 v[5:6], 1, v[5:6]
	s_ashr_i32 s17, s16, 31
	s_lshl_b64 s[22:23], s[16:17], 1
	s_add_u32 s17, s4, s22
	s_addc_u32 s21, s5, s23
	v_add_co_u32 v5, vcc_lo, s17, v5
	v_add_co_ci_u32_e64 v6, null, s21, v6, vcc_lo
	v_cmp_ne_u32_e32 vcc_lo, 1, v8
	global_load_ushort v5, v[5:6], off
	s_waitcnt vmcnt(0)
	ds_write_b16 v7, v5 offset:256
	s_cbranch_vccnz .LBB26_7
; %bb.6:
	global_load_dword v1, v[3:4], off
	s_waitcnt vmcnt(0)
	v_ashrrev_i32_e32 v2, 31, v1
.LBB26_7:
	s_add_i32 s16, s16, s1
	v_lshlrev_b64 v[1:2], 1, v[1:2]
	s_ashr_i32 s17, s16, 31
	s_lshl_b64 s[16:17], s[16:17], 1
	s_add_u32 s4, s4, s16
	s_addc_u32 s5, s5, s17
	v_add_co_u32 v1, vcc_lo, s4, v1
	v_add_co_ci_u32_e64 v2, null, s5, v2, vcc_lo
	global_load_ushort v1, v[1:2], off
	s_waitcnt vmcnt(0)
	ds_write_b16 v7, v1 offset:512
.LBB26_8:
	s_or_b32 exec_lo, exec_lo, s20
	v_lshlrev_b32_e32 v0, 2, v0
	s_mov_b32 s4, exec_lo
	v_lshl_add_u32 v16, s6, 9, v0
	v_cmpx_gt_i32_e64 s0, v16
	s_cbranch_execz .LBB26_26
; %bb.9:
	s_abs_i32 s4, s2
	v_mov_b32_e32 v15, 0
	v_cvt_f32_u32_e32 v0, s4
	v_mov_b32_e32 v14, 0
	v_mov_b32_e32 v23, 0
	;; [unrolled: 1-line block ×4, first 2 shown]
	v_rcp_iflag_f32_e32 v0, v0
	v_mov_b32_e32 v35, 0
	s_cmp_ge_i32 s18, s19
	s_mov_b32 s6, 0
	s_waitcnt lgkmcnt(0)
	s_barrier
	buffer_gl0_inv
	v_mul_f32_e32 v0, 0x4f7ffffe, v0
	v_cvt_u32_f32_e32 v0, v0
	v_readfirstlane_b32 s5, v0
	s_cbranch_scc1 .LBB26_14
; %bb.10:
	s_sub_i32 s16, 0, s4
	s_abs_i32 s17, s1
	s_mul_i32 s16, s16, s5
	s_ashr_i32 s1, s1, 31
	s_mul_hi_u32 s16, s5, s16
	s_ashr_i32 s2, s2, 31
	s_add_i32 s5, s5, s16
	s_xor_b32 s1, s1, s2
	s_mul_hi_u32 s5, s17, s5
	v_ashrrev_i32_e32 v24, 2, v16
	s_mul_i32 s16, s5, s4
	v_ashrrev_i32_e32 v17, 31, v16
	s_sub_i32 s2, s17, s16
	s_add_i32 s16, s5, 1
	s_sub_i32 s17, s2, s4
	s_cmp_ge_u32 s2, s4
	v_mov_b32_e32 v35, 0
	s_cselect_b32 s5, s16, s5
	s_cselect_b32 s2, s17, s2
	s_add_i32 s16, s5, 1
	s_cmp_ge_u32 s2, s4
	v_mov_b32_e32 v34, 0
	s_cselect_b32 s2, s16, s5
	v_mov_b32_e32 v22, 0
	s_xor_b32 s2, s2, s1
	v_mov_b32_e32 v23, 0
	s_sub_i32 s16, s2, s1
	s_bitcmp1_b32 s3, 0
	v_cvt_f32_u32_e32 v0, s16
	s_cselect_b32 s2, -1, 0
	s_sub_i32 s3, 0, s16
	s_xor_b32 s4, s2, -1
	v_mov_b32_e32 v14, 0
	v_rcp_iflag_f32_e32 v0, v0
	v_mov_b32_e32 v15, 0
	v_mul_f32_e32 v0, 0x4f7ffffe, v0
	v_cvt_u32_f32_e32 v0, v0
	v_readfirstlane_b32 s1, v0
	s_mul_i32 s3, s3, s1
	s_mul_hi_u32 s3, s1, s3
	s_add_i32 s1, s1, s3
	s_mul_hi_u32 s1, s18, s1
	s_mul_i32 s3, s1, s16
	s_sub_i32 s2, s18, s3
	s_add_i32 s3, s1, 1
	s_sub_i32 s5, s2, s16
	s_cmp_ge_u32 s2, s16
	s_cselect_b32 s1, s3, s1
	s_cselect_b32 s2, s5, s2
	s_add_i32 s3, s1, 1
	s_cmp_ge_u32 s2, s16
	s_cselect_b32 s17, s3, s1
	s_mul_i32 s1, s17, s0
	s_ashr_i32 s2, s1, 31
	v_add_nc_u32_e32 v2, s1, v16
	s_lshr_b32 s2, s2, 30
	s_add_i32 s2, s1, s2
	s_lshr_b32 s1, s18, 2
	s_ashr_i32 s2, s2, 2
	v_ashrrev_i32_e32 v3, 31, v2
	v_add_nc_u32_e32 v0, s2, v24
	s_mul_i32 s2, s0, s1
	s_ashr_i32 s3, s2, 31
	v_lshlrev_b64 v[2:3], 1, v[2:3]
	v_ashrrev_i32_e32 v1, 31, v0
	s_lshl_b64 s[2:3], s[2:3], 2
	s_add_u32 s2, s8, s2
	s_addc_u32 s3, s9, s3
	v_lshlrev_b64 v[0:1], 2, v[0:1]
	s_ashr_i32 s1, s0, 31
	s_add_i32 s8, s16, s18
	v_add_co_u32 v0, vcc_lo, s10, v0
	v_add_co_ci_u32_e64 v1, null, s11, v1, vcc_lo
	global_load_dword v4, v[0:1], off
	v_add_co_u32 v0, vcc_lo, s12, v2
	v_add_co_ci_u32_e64 v1, null, s13, v3, vcc_lo
	global_load_dwordx2 v[18:19], v[0:1], off
	v_lshlrev_b64 v[0:1], 2, v[16:17]
	v_cndmask_b32_e64 v17, 0, 1, s4
	s_lshl_b64 s[4:5], s[0:1], 2
	v_add_co_u32 v20, vcc_lo, s2, v0
	v_add_co_ci_u32_e64 v21, null, s3, v1, vcc_lo
	s_lshl_b64 s[2:3], s[0:1], 5
	s_waitcnt vmcnt(1)
	v_and_b32_e32 v25, 0xff, v4
	v_bfe_u32 v26, v4, 8, 8
	v_bfe_u32 v27, v4, 16, 8
	v_lshrrev_b32_e32 v28, 24, v4
	s_branch .LBB26_12
.LBB26_11:                              ;   in Loop: Header=BB26_12 Depth=1
	global_load_dwordx4 v[0:3], v[20:21], off
	v_add_co_u32 v12, vcc_lo, v20, s4
	v_add_co_ci_u32_e64 v13, null, s5, v21, vcc_lo
	v_add_nc_u32_e32 v33, v25, v17
	v_add_nc_u32_e32 v32, v26, v17
	;; [unrolled: 1-line block ×3, first 2 shown]
	global_load_dwordx4 v[4:7], v[12:13], off
	v_add_nc_u32_e32 v30, v28, v17
	v_mov_b32_e32 v29, s6
	v_add_co_u32 v12, vcc_lo, v12, s4
	v_add_co_ci_u32_e64 v13, null, s5, v13, vcc_lo
	s_add_i32 s18, s18, 32
	s_add_i32 s6, s6, 64
	s_cmp_ge_i32 s18, s19
	s_waitcnt vmcnt(1)
	v_sub_nc_u32_sdwa v8, v0, v33 dst_sel:DWORD dst_unused:UNUSED_PAD src0_sel:BYTE_0 src1_sel:DWORD
	v_cvt_f32_i32_e32 v8, v8
	v_cvt_f16_f32_e32 v36, v8
	v_sub_nc_u32_sdwa v8, v0, v33 dst_sel:DWORD dst_unused:UNUSED_PAD src0_sel:BYTE_1 src1_sel:DWORD
	v_cvt_f32_i32_e32 v8, v8
	v_cvt_f16_f32_e32 v37, v8
	v_sub_nc_u32_sdwa v8, v0, v33 dst_sel:DWORD dst_unused:UNUSED_PAD src0_sel:BYTE_2 src1_sel:DWORD
	v_sub_nc_u32_sdwa v0, v0, v33 dst_sel:DWORD dst_unused:UNUSED_PAD src0_sel:BYTE_3 src1_sel:DWORD
	v_cvt_f32_i32_e32 v8, v8
	v_cvt_f32_i32_e32 v0, v0
	v_cvt_f16_f32_e32 v42, v8
	v_cvt_f16_f32_e32 v43, v0
	s_waitcnt vmcnt(0)
	v_sub_nc_u32_sdwa v0, v4, v33 dst_sel:DWORD dst_unused:UNUSED_PAD src0_sel:BYTE_0 src1_sel:DWORD
	v_cvt_f32_i32_e32 v0, v0
	v_cvt_f16_f32_e32 v44, v0
	v_sub_nc_u32_sdwa v0, v4, v33 dst_sel:DWORD dst_unused:UNUSED_PAD src0_sel:BYTE_1 src1_sel:DWORD
	v_cvt_f32_i32_e32 v0, v0
	v_cvt_f16_f32_e32 v45, v0
	v_sub_nc_u32_sdwa v0, v4, v33 dst_sel:DWORD dst_unused:UNUSED_PAD src0_sel:BYTE_2 src1_sel:DWORD
	v_cvt_f32_i32_e32 v0, v0
	v_cvt_f16_f32_e32 v46, v0
	v_sub_nc_u32_sdwa v0, v4, v33 dst_sel:DWORD dst_unused:UNUSED_PAD src0_sel:BYTE_3 src1_sel:DWORD
	v_cvt_f32_i32_e32 v0, v0
	v_cvt_f16_f32_e32 v47, v0
	v_sub_nc_u32_sdwa v0, v1, v32 dst_sel:DWORD dst_unused:UNUSED_PAD src0_sel:BYTE_0 src1_sel:DWORD
	v_cvt_f32_i32_e32 v0, v0
	v_cvt_f16_f32_e32 v48, v0
	v_sub_nc_u32_sdwa v0, v1, v32 dst_sel:DWORD dst_unused:UNUSED_PAD src0_sel:BYTE_1 src1_sel:DWORD
	v_cvt_f32_i32_e32 v0, v0
	v_cvt_f16_f32_e32 v49, v0
	v_sub_nc_u32_sdwa v0, v1, v32 dst_sel:DWORD dst_unused:UNUSED_PAD src0_sel:BYTE_2 src1_sel:DWORD
	v_cvt_f32_i32_e32 v0, v0
	v_cvt_f16_f32_e32 v50, v0
	v_sub_nc_u32_sdwa v0, v1, v32 dst_sel:DWORD dst_unused:UNUSED_PAD src0_sel:BYTE_3 src1_sel:DWORD
	v_cvt_f32_i32_e32 v0, v0
	v_cvt_f16_f32_e32 v51, v0
	;; [unrolled: 12-line block ×7, first 2 shown]
	ds_read_b128 v[38:41], v29
	ds_read_b128 v[8:11], v29 offset:16
	ds_read_b128 v[4:7], v29 offset:32
	;; [unrolled: 1-line block ×4, first 2 shown]
	s_waitcnt lgkmcnt(4)
	v_fma_mix_f32 v72, v36, v38, 0 op_sel_hi:[1,1,0]
	v_fma_mix_f32 v72, v37, v38, v72 op_sel:[0,1,0] op_sel_hi:[1,1,0]
	v_fma_mix_f32 v72, v42, v39, v72 op_sel_hi:[1,1,0]
	v_fma_mix_f32 v72, v43, v39, v72 op_sel:[0,1,0] op_sel_hi:[1,1,0]
	v_fma_mix_f32 v72, v44, v40, v72 op_sel_hi:[1,1,0]
	v_fma_mix_f32 v72, v45, v40, v72 op_sel:[0,1,0] op_sel_hi:[1,1,0]
	v_fma_mix_f32 v72, v46, v41, v72 op_sel_hi:[1,1,0]
	v_fma_mix_f32 v72, v47, v41, v72 op_sel:[0,1,0] op_sel_hi:[1,1,0]
	v_fma_mixlo_f16 v72, v72, v18, 0 op_sel_hi:[0,1,0]
	v_add_f16_e32 v74, v15, v72
	v_fma_mix_f32 v72, v48, v38, 0 op_sel_hi:[1,1,0]
	v_fma_mix_f32 v72, v49, v38, v72 op_sel:[0,1,0] op_sel_hi:[1,1,0]
	v_fma_mix_f32 v72, v50, v39, v72 op_sel_hi:[1,1,0]
	v_fma_mix_f32 v72, v51, v39, v72 op_sel:[0,1,0] op_sel_hi:[1,1,0]
	;; [unrolled: 2-line block ×4, first 2 shown]
	v_fma_mixlo_f16 v72, v72, v18, 0 op_sel:[0,1,0] op_sel_hi:[0,1,0]
	v_add_f16_sdwa v75, v15, v72 dst_sel:DWORD dst_unused:UNUSED_PAD src0_sel:WORD_1 src1_sel:DWORD
	v_fma_mix_f32 v15, v56, v38, 0 op_sel_hi:[1,1,0]
	v_fma_mix_f32 v15, v57, v38, v15 op_sel:[0,1,0] op_sel_hi:[1,1,0]
	v_fma_mix_f32 v15, v58, v39, v15 op_sel_hi:[1,1,0]
	v_fma_mix_f32 v15, v59, v39, v15 op_sel:[0,1,0] op_sel_hi:[1,1,0]
	;; [unrolled: 2-line block ×4, first 2 shown]
	v_fma_mixlo_f16 v15, v15, v19, 0 op_sel_hi:[0,1,0]
	v_add_f16_e32 v76, v14, v15
	v_fma_mix_f32 v15, v64, v38, 0 op_sel_hi:[1,1,0]
	v_fma_mix_f32 v15, v65, v38, v15 op_sel:[0,1,0] op_sel_hi:[1,1,0]
	v_fma_mix_f32 v15, v66, v39, v15 op_sel_hi:[1,1,0]
	v_fma_mix_f32 v15, v67, v39, v15 op_sel:[0,1,0] op_sel_hi:[1,1,0]
	;; [unrolled: 2-line block ×4, first 2 shown]
	v_fma_mixlo_f16 v15, v15, v19, 0 op_sel:[0,1,0] op_sel_hi:[0,1,0]
	v_add_f16_sdwa v77, v14, v15 dst_sel:DWORD dst_unused:UNUSED_PAD src0_sel:WORD_1 src1_sel:DWORD
	s_waitcnt lgkmcnt(0)
	v_fma_mix_f32 v14, v36, v78, 0 op_sel_hi:[1,1,0]
	v_fma_mix_f32 v14, v37, v78, v14 op_sel:[0,1,0] op_sel_hi:[1,1,0]
	v_fma_mix_f32 v14, v42, v79, v14 op_sel_hi:[1,1,0]
	v_fma_mix_f32 v14, v43, v79, v14 op_sel:[0,1,0] op_sel_hi:[1,1,0]
	;; [unrolled: 2-line block ×4, first 2 shown]
	v_fma_mixlo_f16 v14, v14, v18, 0 op_sel_hi:[0,1,0]
	v_add_f16_e32 v38, v23, v14
	v_fma_mix_f32 v14, v48, v78, 0 op_sel_hi:[1,1,0]
	v_fma_mix_f32 v14, v49, v78, v14 op_sel:[0,1,0] op_sel_hi:[1,1,0]
	v_fma_mix_f32 v14, v50, v79, v14 op_sel_hi:[1,1,0]
	v_fma_mix_f32 v14, v51, v79, v14 op_sel:[0,1,0] op_sel_hi:[1,1,0]
	;; [unrolled: 2-line block ×4, first 2 shown]
	v_fma_mixlo_f16 v14, v14, v18, 0 op_sel:[0,1,0] op_sel_hi:[0,1,0]
	v_add_f16_sdwa v39, v23, v14 dst_sel:DWORD dst_unused:UNUSED_PAD src0_sel:WORD_1 src1_sel:DWORD
	v_fma_mix_f32 v14, v56, v78, 0 op_sel_hi:[1,1,0]
	v_fma_mix_f32 v14, v57, v78, v14 op_sel:[0,1,0] op_sel_hi:[1,1,0]
	v_fma_mix_f32 v14, v58, v79, v14 op_sel_hi:[1,1,0]
	v_fma_mix_f32 v14, v59, v79, v14 op_sel:[0,1,0] op_sel_hi:[1,1,0]
	;; [unrolled: 2-line block ×4, first 2 shown]
	v_fma_mixlo_f16 v14, v14, v19, 0 op_sel_hi:[0,1,0]
	v_add_f16_e32 v40, v22, v14
	v_fma_mix_f32 v14, v64, v78, 0 op_sel_hi:[1,1,0]
	v_fma_mix_f32 v14, v65, v78, v14 op_sel:[0,1,0] op_sel_hi:[1,1,0]
	v_fma_mix_f32 v14, v66, v79, v14 op_sel_hi:[1,1,0]
	v_fma_mix_f32 v14, v67, v79, v14 op_sel:[0,1,0] op_sel_hi:[1,1,0]
	;; [unrolled: 2-line block ×4, first 2 shown]
	ds_read_b128 v[78:81], v29 offset:512
	v_fma_mixlo_f16 v14, v14, v19, 0 op_sel:[0,1,0] op_sel_hi:[0,1,0]
	v_add_f16_sdwa v41, v22, v14 dst_sel:DWORD dst_unused:UNUSED_PAD src0_sel:WORD_1 src1_sel:DWORD
	s_waitcnt lgkmcnt(0)
	v_fma_mix_f32 v14, v36, v78, 0 op_sel_hi:[1,1,0]
	v_fma_mix_f32 v15, v48, v78, 0 op_sel_hi:[1,1,0]
	v_fma_mix_f32 v22, v56, v78, 0 op_sel_hi:[1,1,0]
	v_fma_mix_f32 v23, v64, v78, 0 op_sel_hi:[1,1,0]
	v_fma_mix_f32 v14, v37, v78, v14 op_sel:[0,1,0] op_sel_hi:[1,1,0]
	v_fma_mix_f32 v15, v49, v78, v15 op_sel:[0,1,0] op_sel_hi:[1,1,0]
	v_fma_mix_f32 v22, v57, v78, v22 op_sel:[0,1,0] op_sel_hi:[1,1,0]
	v_fma_mix_f32 v23, v65, v78, v23 op_sel:[0,1,0] op_sel_hi:[1,1,0]
	v_fma_mix_f32 v14, v42, v79, v14 op_sel_hi:[1,1,0]
	v_fma_mix_f32 v15, v50, v79, v15 op_sel_hi:[1,1,0]
	v_fma_mix_f32 v22, v58, v79, v22 op_sel_hi:[1,1,0]
	v_fma_mix_f32 v23, v66, v79, v23 op_sel_hi:[1,1,0]
	v_fma_mix_f32 v14, v43, v79, v14 op_sel:[0,1,0] op_sel_hi:[1,1,0]
	v_fma_mix_f32 v15, v51, v79, v15 op_sel:[0,1,0] op_sel_hi:[1,1,0]
	v_fma_mix_f32 v22, v59, v79, v22 op_sel:[0,1,0] op_sel_hi:[1,1,0]
	v_fma_mix_f32 v23, v67, v79, v23 op_sel:[0,1,0] op_sel_hi:[1,1,0]
	;; [unrolled: 8-line block ×4, first 2 shown]
	v_fma_mixlo_f16 v14, v14, v18, 0 op_sel_hi:[0,1,0]
	v_fma_mixlo_f16 v15, v15, v18, 0 op_sel:[0,1,0] op_sel_hi:[0,1,0]
	v_fma_mixlo_f16 v22, v22, v19, 0 op_sel_hi:[0,1,0]
	v_fma_mixlo_f16 v23, v23, v19, 0 op_sel:[0,1,0] op_sel_hi:[0,1,0]
	v_add_f16_e32 v14, v34, v14
	v_add_f16_sdwa v15, v34, v15 dst_sel:DWORD dst_unused:UNUSED_PAD src0_sel:WORD_1 src1_sel:DWORD
	v_add_f16_e32 v22, v35, v22
	v_add_f16_sdwa v23, v35, v23 dst_sel:DWORD dst_unused:UNUSED_PAD src0_sel:WORD_1 src1_sel:DWORD
	global_load_dwordx4 v[34:37], v[12:13], off
	v_add_co_u32 v12, vcc_lo, v12, s4
	v_add_co_ci_u32_e64 v13, null, s5, v13, vcc_lo
	global_load_dwordx4 v[70:73], v[12:13], off
	s_waitcnt vmcnt(1)
	v_sub_nc_u32_sdwa v42, v34, v33 dst_sel:DWORD dst_unused:UNUSED_PAD src0_sel:BYTE_0 src1_sel:DWORD
	v_sub_nc_u32_sdwa v43, v34, v33 dst_sel:DWORD dst_unused:UNUSED_PAD src0_sel:BYTE_1 src1_sel:DWORD
	v_sub_nc_u32_sdwa v44, v34, v33 dst_sel:DWORD dst_unused:UNUSED_PAD src0_sel:BYTE_2 src1_sel:DWORD
	v_sub_nc_u32_sdwa v34, v34, v33 dst_sel:DWORD dst_unused:UNUSED_PAD src0_sel:BYTE_3 src1_sel:DWORD
	v_cvt_f32_i32_e32 v42, v42
	v_cvt_f32_i32_e32 v43, v43
	;; [unrolled: 1-line block ×4, first 2 shown]
	v_cvt_f16_f32_e32 v42, v42
	v_cvt_f16_f32_e32 v43, v43
	;; [unrolled: 1-line block ×4, first 2 shown]
	s_waitcnt vmcnt(0)
	v_sub_nc_u32_sdwa v34, v70, v33 dst_sel:DWORD dst_unused:UNUSED_PAD src0_sel:BYTE_0 src1_sel:DWORD
	v_cvt_f32_i32_e32 v34, v34
	v_cvt_f16_f32_e32 v46, v34
	v_sub_nc_u32_sdwa v34, v70, v33 dst_sel:DWORD dst_unused:UNUSED_PAD src0_sel:BYTE_1 src1_sel:DWORD
	v_cvt_f32_i32_e32 v34, v34
	v_cvt_f16_f32_e32 v47, v34
	v_sub_nc_u32_sdwa v34, v70, v33 dst_sel:DWORD dst_unused:UNUSED_PAD src0_sel:BYTE_2 src1_sel:DWORD
	v_cvt_f32_i32_e32 v34, v34
	v_cvt_f16_f32_e32 v48, v34
	v_sub_nc_u32_sdwa v34, v70, v33 dst_sel:DWORD dst_unused:UNUSED_PAD src0_sel:BYTE_3 src1_sel:DWORD
	v_cvt_f32_i32_e32 v34, v34
	v_cvt_f16_f32_e32 v49, v34
	v_sub_nc_u32_sdwa v34, v35, v32 dst_sel:DWORD dst_unused:UNUSED_PAD src0_sel:BYTE_0 src1_sel:DWORD
	v_cvt_f32_i32_e32 v34, v34
	v_cvt_f16_f32_e32 v50, v34
	v_sub_nc_u32_sdwa v34, v35, v32 dst_sel:DWORD dst_unused:UNUSED_PAD src0_sel:BYTE_1 src1_sel:DWORD
	v_cvt_f32_i32_e32 v34, v34
	v_cvt_f16_f32_e32 v51, v34
	v_sub_nc_u32_sdwa v34, v35, v32 dst_sel:DWORD dst_unused:UNUSED_PAD src0_sel:BYTE_2 src1_sel:DWORD
	v_cvt_f32_i32_e32 v34, v34
	v_cvt_f16_f32_e32 v52, v34
	v_sub_nc_u32_sdwa v34, v35, v32 dst_sel:DWORD dst_unused:UNUSED_PAD src0_sel:BYTE_3 src1_sel:DWORD
	v_cvt_f32_i32_e32 v34, v34
	v_cvt_f16_f32_e32 v53, v34
	;; [unrolled: 12-line block ×7, first 2 shown]
	v_fma_mix_f32 v34, v42, v8, 0 op_sel_hi:[1,1,0]
	v_fma_mix_f32 v34, v43, v8, v34 op_sel:[0,1,0] op_sel_hi:[1,1,0]
	v_fma_mix_f32 v34, v44, v9, v34 op_sel_hi:[1,1,0]
	v_fma_mix_f32 v34, v45, v9, v34 op_sel:[0,1,0] op_sel_hi:[1,1,0]
	;; [unrolled: 2-line block ×4, first 2 shown]
	v_fma_mixlo_f16 v34, v34, v18, 0 op_sel_hi:[0,1,0]
	v_add_f16_e32 v37, v74, v34
	v_fma_mix_f32 v34, v50, v8, 0 op_sel_hi:[1,1,0]
	v_fma_mix_f32 v34, v51, v8, v34 op_sel:[0,1,0] op_sel_hi:[1,1,0]
	v_fma_mix_f32 v34, v52, v9, v34 op_sel_hi:[1,1,0]
	v_fma_mix_f32 v34, v53, v9, v34 op_sel:[0,1,0] op_sel_hi:[1,1,0]
	v_fma_mix_f32 v34, v54, v10, v34 op_sel_hi:[1,1,0]
	v_fma_mix_f32 v34, v55, v10, v34 op_sel:[0,1,0] op_sel_hi:[1,1,0]
	v_fma_mix_f32 v34, v56, v11, v34 op_sel_hi:[1,1,0]
	v_fma_mix_f32 v34, v57, v11, v34 op_sel:[0,1,0] op_sel_hi:[1,1,0]
	v_fma_mixlo_f16 v34, v34, v18, 0 op_sel:[0,1,0] op_sel_hi:[0,1,0]
	v_add_f16_e32 v36, v75, v34
	v_fma_mix_f32 v34, v58, v8, 0 op_sel_hi:[1,1,0]
	v_fma_mix_f32 v34, v59, v8, v34 op_sel:[0,1,0] op_sel_hi:[1,1,0]
	v_fma_mix_f32 v34, v60, v9, v34 op_sel_hi:[1,1,0]
	v_fma_mix_f32 v34, v61, v9, v34 op_sel:[0,1,0] op_sel_hi:[1,1,0]
	;; [unrolled: 2-line block ×4, first 2 shown]
	v_fma_mixlo_f16 v34, v34, v19, 0 op_sel_hi:[0,1,0]
	v_add_f16_e32 v35, v76, v34
	v_fma_mix_f32 v34, v66, v8, 0 op_sel_hi:[1,1,0]
	v_fma_mix_f32 v8, v67, v8, v34 op_sel:[0,1,0] op_sel_hi:[1,1,0]
	v_fma_mix_f32 v8, v68, v9, v8 op_sel_hi:[1,1,0]
	v_fma_mix_f32 v8, v69, v9, v8 op_sel:[0,1,0] op_sel_hi:[1,1,0]
	;; [unrolled: 2-line block ×4, first 2 shown]
	v_fma_mixlo_f16 v8, v8, v19, 0 op_sel:[0,1,0] op_sel_hi:[0,1,0]
	v_add_f16_e32 v34, v77, v8
	ds_read_b128 v[8:11], v29 offset:272
	s_waitcnt lgkmcnt(0)
	v_fma_mix_f32 v74, v42, v8, 0 op_sel_hi:[1,1,0]
	v_fma_mix_f32 v74, v43, v8, v74 op_sel:[0,1,0] op_sel_hi:[1,1,0]
	v_fma_mix_f32 v74, v44, v9, v74 op_sel_hi:[1,1,0]
	v_fma_mix_f32 v74, v45, v9, v74 op_sel:[0,1,0] op_sel_hi:[1,1,0]
	;; [unrolled: 2-line block ×4, first 2 shown]
	v_fma_mixlo_f16 v74, v74, v18, 0 op_sel_hi:[0,1,0]
	v_add_f16_e32 v38, v38, v74
	v_fma_mix_f32 v74, v50, v8, 0 op_sel_hi:[1,1,0]
	v_fma_mix_f32 v74, v51, v8, v74 op_sel:[0,1,0] op_sel_hi:[1,1,0]
	v_fma_mix_f32 v74, v52, v9, v74 op_sel_hi:[1,1,0]
	v_fma_mix_f32 v74, v53, v9, v74 op_sel:[0,1,0] op_sel_hi:[1,1,0]
	;; [unrolled: 2-line block ×4, first 2 shown]
	v_fma_mixlo_f16 v74, v74, v18, 0 op_sel:[0,1,0] op_sel_hi:[0,1,0]
	v_add_f16_e32 v39, v39, v74
	v_fma_mix_f32 v74, v58, v8, 0 op_sel_hi:[1,1,0]
	v_fma_mix_f32 v74, v59, v8, v74 op_sel:[0,1,0] op_sel_hi:[1,1,0]
	v_fma_mix_f32 v74, v60, v9, v74 op_sel_hi:[1,1,0]
	v_fma_mix_f32 v74, v61, v9, v74 op_sel:[0,1,0] op_sel_hi:[1,1,0]
	;; [unrolled: 2-line block ×4, first 2 shown]
	v_fma_mixlo_f16 v74, v74, v19, 0 op_sel_hi:[0,1,0]
	v_add_f16_e32 v40, v40, v74
	v_fma_mix_f32 v74, v66, v8, 0 op_sel_hi:[1,1,0]
	v_fma_mix_f32 v8, v67, v8, v74 op_sel:[0,1,0] op_sel_hi:[1,1,0]
	v_fma_mix_f32 v8, v68, v9, v8 op_sel_hi:[1,1,0]
	v_fma_mix_f32 v8, v69, v9, v8 op_sel:[0,1,0] op_sel_hi:[1,1,0]
	;; [unrolled: 2-line block ×4, first 2 shown]
	v_fma_mixlo_f16 v8, v8, v19, 0 op_sel:[0,1,0] op_sel_hi:[0,1,0]
	v_add_f16_e32 v41, v41, v8
	ds_read_b128 v[8:11], v29 offset:528
	s_waitcnt lgkmcnt(0)
	v_fma_mix_f32 v42, v42, v8, 0 op_sel_hi:[1,1,0]
	v_fma_mix_f32 v42, v43, v8, v42 op_sel:[0,1,0] op_sel_hi:[1,1,0]
	v_fma_mix_f32 v42, v44, v9, v42 op_sel_hi:[1,1,0]
	v_fma_mix_f32 v42, v45, v9, v42 op_sel:[0,1,0] op_sel_hi:[1,1,0]
	;; [unrolled: 2-line block ×4, first 2 shown]
	v_fma_mixlo_f16 v42, v42, v18, 0 op_sel_hi:[0,1,0]
	v_add_f16_e32 v42, v14, v42
	v_fma_mix_f32 v14, v50, v8, 0 op_sel_hi:[1,1,0]
	v_fma_mix_f32 v14, v51, v8, v14 op_sel:[0,1,0] op_sel_hi:[1,1,0]
	v_fma_mix_f32 v14, v52, v9, v14 op_sel_hi:[1,1,0]
	v_fma_mix_f32 v14, v53, v9, v14 op_sel:[0,1,0] op_sel_hi:[1,1,0]
	;; [unrolled: 2-line block ×4, first 2 shown]
	v_fma_mixlo_f16 v14, v14, v18, 0 op_sel:[0,1,0] op_sel_hi:[0,1,0]
	v_add_f16_e32 v43, v15, v14
	v_fma_mix_f32 v14, v58, v8, 0 op_sel_hi:[1,1,0]
	v_fma_mix_f32 v14, v59, v8, v14 op_sel:[0,1,0] op_sel_hi:[1,1,0]
	v_fma_mix_f32 v14, v60, v9, v14 op_sel_hi:[1,1,0]
	v_fma_mix_f32 v14, v61, v9, v14 op_sel:[0,1,0] op_sel_hi:[1,1,0]
	;; [unrolled: 2-line block ×4, first 2 shown]
	v_fma_mixlo_f16 v14, v14, v19, 0 op_sel_hi:[0,1,0]
	v_add_f16_e32 v44, v22, v14
	v_fma_mix_f32 v14, v66, v8, 0 op_sel_hi:[1,1,0]
	v_fma_mix_f32 v8, v67, v8, v14 op_sel:[0,1,0] op_sel_hi:[1,1,0]
	v_fma_mix_f32 v8, v68, v9, v8 op_sel_hi:[1,1,0]
	v_fma_mix_f32 v8, v69, v9, v8 op_sel:[0,1,0] op_sel_hi:[1,1,0]
	;; [unrolled: 2-line block ×4, first 2 shown]
	v_fma_mixlo_f16 v8, v8, v19, 0 op_sel:[0,1,0] op_sel_hi:[0,1,0]
	v_add_f16_e32 v45, v23, v8
	v_add_co_u32 v8, vcc_lo, v12, s4
	v_add_co_ci_u32_e64 v9, null, s5, v13, vcc_lo
	v_add_co_u32 v22, vcc_lo, v8, s4
	v_add_co_ci_u32_e64 v23, null, s5, v9, vcc_lo
	s_clause 0x1
	global_load_dwordx4 v[12:15], v[8:9], off
	global_load_dwordx4 v[8:11], v[22:23], off
	s_waitcnt vmcnt(1)
	v_sub_nc_u32_sdwa v46, v12, v33 dst_sel:DWORD dst_unused:UNUSED_PAD src0_sel:BYTE_0 src1_sel:DWORD
	v_sub_nc_u32_sdwa v47, v12, v33 dst_sel:DWORD dst_unused:UNUSED_PAD src0_sel:BYTE_1 src1_sel:DWORD
	v_sub_nc_u32_sdwa v48, v12, v33 dst_sel:DWORD dst_unused:UNUSED_PAD src0_sel:BYTE_2 src1_sel:DWORD
	s_waitcnt vmcnt(0)
	v_sub_nc_u32_sdwa v57, v9, v32 dst_sel:DWORD dst_unused:UNUSED_PAD src0_sel:BYTE_2 src1_sel:DWORD
	v_sub_nc_u32_sdwa v12, v12, v33 dst_sel:DWORD dst_unused:UNUSED_PAD src0_sel:BYTE_3 src1_sel:DWORD
	v_cvt_f32_i32_e32 v46, v46
	v_cvt_f32_i32_e32 v47, v47
	;; [unrolled: 1-line block ×5, first 2 shown]
	v_cvt_f16_f32_e32 v46, v46
	v_cvt_f16_f32_e32 v47, v47
	;; [unrolled: 1-line block ×4, first 2 shown]
	v_sub_nc_u32_sdwa v57, v14, v31 dst_sel:DWORD dst_unused:UNUSED_PAD src0_sel:BYTE_0 src1_sel:DWORD
	v_sub_nc_u32_sdwa v49, v8, v33 dst_sel:DWORD dst_unused:UNUSED_PAD src0_sel:BYTE_0 src1_sel:DWORD
	v_cvt_f16_f32_e32 v12, v12
	v_sub_nc_u32_sdwa v50, v8, v33 dst_sel:DWORD dst_unused:UNUSED_PAD src0_sel:BYTE_1 src1_sel:DWORD
	v_sub_nc_u32_sdwa v51, v8, v33 dst_sel:DWORD dst_unused:UNUSED_PAD src0_sel:BYTE_2 src1_sel:DWORD
	v_cvt_f32_i32_e32 v57, v57
	v_cvt_f32_i32_e32 v49, v49
	v_sub_nc_u32_sdwa v8, v8, v33 dst_sel:DWORD dst_unused:UNUSED_PAD src0_sel:BYTE_3 src1_sel:DWORD
	v_cvt_f32_i32_e32 v50, v50
	v_cvt_f32_i32_e32 v51, v51
	v_cvt_f16_f32_e32 v62, v57
	v_sub_nc_u32_sdwa v57, v14, v31 dst_sel:DWORD dst_unused:UNUSED_PAD src0_sel:BYTE_1 src1_sel:DWORD
	v_cvt_f16_f32_e32 v49, v49
	v_cvt_f16_f32_e32 v50, v50
	;; [unrolled: 1-line block ×3, first 2 shown]
	v_cvt_f32_i32_e32 v8, v8
	v_cvt_f32_i32_e32 v57, v57
	v_sub_nc_u32_sdwa v52, v13, v32 dst_sel:DWORD dst_unused:UNUSED_PAD src0_sel:BYTE_0 src1_sel:DWORD
	v_sub_nc_u32_sdwa v53, v13, v32 dst_sel:DWORD dst_unused:UNUSED_PAD src0_sel:BYTE_1 src1_sel:DWORD
	v_sub_nc_u32_sdwa v54, v13, v32 dst_sel:DWORD dst_unused:UNUSED_PAD src0_sel:BYTE_2 src1_sel:DWORD
	v_cvt_f16_f32_e32 v8, v8
	v_cvt_f16_f32_e32 v63, v57
	v_sub_nc_u32_sdwa v57, v14, v31 dst_sel:DWORD dst_unused:UNUSED_PAD src0_sel:BYTE_2 src1_sel:DWORD
	v_cvt_f32_i32_e32 v52, v52
	v_cvt_f32_i32_e32 v53, v53
	;; [unrolled: 1-line block ×3, first 2 shown]
	v_sub_nc_u32_sdwa v13, v13, v32 dst_sel:DWORD dst_unused:UNUSED_PAD src0_sel:BYTE_3 src1_sel:DWORD
	v_cvt_f32_i32_e32 v57, v57
	v_cvt_f16_f32_e32 v52, v52
	v_cvt_f16_f32_e32 v53, v53
	;; [unrolled: 1-line block ×3, first 2 shown]
	v_cvt_f32_i32_e32 v13, v13
	v_cvt_f16_f32_e32 v64, v57
	v_sub_nc_u32_sdwa v57, v10, v31 dst_sel:DWORD dst_unused:UNUSED_PAD src0_sel:BYTE_0 src1_sel:DWORD
	v_sub_nc_u32_sdwa v55, v9, v32 dst_sel:DWORD dst_unused:UNUSED_PAD src0_sel:BYTE_0 src1_sel:DWORD
	v_sub_nc_u32_sdwa v56, v9, v32 dst_sel:DWORD dst_unused:UNUSED_PAD src0_sel:BYTE_1 src1_sel:DWORD
	v_cvt_f16_f32_e32 v13, v13
	v_sub_nc_u32_sdwa v9, v9, v32 dst_sel:DWORD dst_unused:UNUSED_PAD src0_sel:BYTE_3 src1_sel:DWORD
	v_cvt_f32_i32_e32 v57, v57
	v_cvt_f32_i32_e32 v55, v55
	v_cvt_f32_i32_e32 v56, v56
	v_sub_nc_u32_sdwa v14, v14, v31 dst_sel:DWORD dst_unused:UNUSED_PAD src0_sel:BYTE_3 src1_sel:DWORD
	v_cvt_f32_i32_e32 v9, v9
	v_cvt_f16_f32_e32 v65, v57
	v_sub_nc_u32_sdwa v57, v10, v31 dst_sel:DWORD dst_unused:UNUSED_PAD src0_sel:BYTE_1 src1_sel:DWORD
	v_cvt_f16_f32_e32 v55, v55
	v_cvt_f16_f32_e32 v56, v56
	;; [unrolled: 1-line block ×3, first 2 shown]
	v_cvt_f32_i32_e32 v14, v14
	v_cvt_f32_i32_e32 v57, v57
	v_cvt_f16_f32_e32 v14, v14
	v_cvt_f16_f32_e32 v66, v57
	v_sub_nc_u32_sdwa v57, v10, v31 dst_sel:DWORD dst_unused:UNUSED_PAD src0_sel:BYTE_2 src1_sel:DWORD
	v_sub_nc_u32_sdwa v10, v10, v31 dst_sel:DWORD dst_unused:UNUSED_PAD src0_sel:BYTE_3 src1_sel:DWORD
	v_cvt_f32_i32_e32 v57, v57
	v_cvt_f32_i32_e32 v10, v10
	v_cvt_f16_f32_e32 v67, v57
	v_sub_nc_u32_sdwa v57, v15, v30 dst_sel:DWORD dst_unused:UNUSED_PAD src0_sel:BYTE_0 src1_sel:DWORD
	v_cvt_f16_f32_e32 v10, v10
	v_cvt_f32_i32_e32 v57, v57
	v_cvt_f16_f32_e32 v68, v57
	v_sub_nc_u32_sdwa v57, v15, v30 dst_sel:DWORD dst_unused:UNUSED_PAD src0_sel:BYTE_1 src1_sel:DWORD
	v_cvt_f32_i32_e32 v57, v57
	v_cvt_f16_f32_e32 v69, v57
	v_sub_nc_u32_sdwa v57, v15, v30 dst_sel:DWORD dst_unused:UNUSED_PAD src0_sel:BYTE_2 src1_sel:DWORD
	v_sub_nc_u32_sdwa v15, v15, v30 dst_sel:DWORD dst_unused:UNUSED_PAD src0_sel:BYTE_3 src1_sel:DWORD
	v_cvt_f32_i32_e32 v57, v57
	v_cvt_f32_i32_e32 v15, v15
	v_cvt_f16_f32_e32 v70, v57
	v_sub_nc_u32_sdwa v57, v11, v30 dst_sel:DWORD dst_unused:UNUSED_PAD src0_sel:BYTE_0 src1_sel:DWORD
	v_cvt_f16_f32_e32 v15, v15
	v_cvt_f32_i32_e32 v57, v57
	v_cvt_f16_f32_e32 v71, v57
	v_sub_nc_u32_sdwa v57, v11, v30 dst_sel:DWORD dst_unused:UNUSED_PAD src0_sel:BYTE_1 src1_sel:DWORD
	v_cvt_f32_i32_e32 v57, v57
	v_cvt_f16_f32_e32 v72, v57
	v_sub_nc_u32_sdwa v57, v11, v30 dst_sel:DWORD dst_unused:UNUSED_PAD src0_sel:BYTE_2 src1_sel:DWORD
	v_sub_nc_u32_sdwa v11, v11, v30 dst_sel:DWORD dst_unused:UNUSED_PAD src0_sel:BYTE_3 src1_sel:DWORD
	v_cvt_f32_i32_e32 v57, v57
	v_cvt_f32_i32_e32 v11, v11
	v_cvt_f16_f32_e32 v73, v57
	v_cvt_f16_f32_e32 v74, v11
	v_fma_mix_f32 v11, v46, v4, 0 op_sel_hi:[1,1,0]
	v_fma_mix_f32 v11, v47, v4, v11 op_sel:[0,1,0] op_sel_hi:[1,1,0]
	v_fma_mix_f32 v11, v48, v5, v11 op_sel_hi:[1,1,0]
	v_fma_mix_f32 v11, v12, v5, v11 op_sel:[0,1,0] op_sel_hi:[1,1,0]
	;; [unrolled: 2-line block ×4, first 2 shown]
	v_fma_mixlo_f16 v11, v11, v18, 0 op_sel_hi:[0,1,0]
	v_add_f16_e32 v75, v37, v11
	v_fma_mix_f32 v11, v52, v4, 0 op_sel_hi:[1,1,0]
	v_fma_mix_f32 v11, v53, v4, v11 op_sel:[0,1,0] op_sel_hi:[1,1,0]
	v_fma_mix_f32 v11, v54, v5, v11 op_sel_hi:[1,1,0]
	v_fma_mix_f32 v11, v13, v5, v11 op_sel:[0,1,0] op_sel_hi:[1,1,0]
	;; [unrolled: 2-line block ×4, first 2 shown]
	v_fma_mixlo_f16 v11, v11, v18, 0 op_sel:[0,1,0] op_sel_hi:[0,1,0]
	v_add_f16_e32 v76, v36, v11
	v_fma_mix_f32 v11, v62, v4, 0 op_sel_hi:[1,1,0]
	v_fma_mix_f32 v11, v63, v4, v11 op_sel:[0,1,0] op_sel_hi:[1,1,0]
	v_fma_mix_f32 v11, v64, v5, v11 op_sel_hi:[1,1,0]
	v_fma_mix_f32 v11, v14, v5, v11 op_sel:[0,1,0] op_sel_hi:[1,1,0]
	;; [unrolled: 2-line block ×4, first 2 shown]
	v_fma_mixlo_f16 v11, v11, v19, 0 op_sel_hi:[0,1,0]
	v_add_f16_e32 v77, v35, v11
	v_fma_mix_f32 v11, v68, v4, 0 op_sel_hi:[1,1,0]
	v_fma_mix_f32 v4, v69, v4, v11 op_sel:[0,1,0] op_sel_hi:[1,1,0]
	v_fma_mix_f32 v4, v70, v5, v4 op_sel_hi:[1,1,0]
	v_fma_mix_f32 v4, v15, v5, v4 op_sel:[0,1,0] op_sel_hi:[1,1,0]
	;; [unrolled: 2-line block ×4, first 2 shown]
	v_fma_mixlo_f16 v4, v4, v19, 0 op_sel:[0,1,0] op_sel_hi:[0,1,0]
	v_add_f16_e32 v78, v34, v4
	ds_read_b128 v[4:7], v29 offset:288
	s_waitcnt lgkmcnt(0)
	v_fma_mix_f32 v11, v46, v4, 0 op_sel_hi:[1,1,0]
	v_fma_mix_f32 v11, v47, v4, v11 op_sel:[0,1,0] op_sel_hi:[1,1,0]
	v_fma_mix_f32 v11, v48, v5, v11 op_sel_hi:[1,1,0]
	v_fma_mix_f32 v11, v12, v5, v11 op_sel:[0,1,0] op_sel_hi:[1,1,0]
	;; [unrolled: 2-line block ×4, first 2 shown]
	v_fma_mixlo_f16 v11, v11, v18, 0 op_sel_hi:[0,1,0]
	v_add_f16_e32 v59, v38, v11
	v_fma_mix_f32 v11, v52, v4, 0 op_sel_hi:[1,1,0]
	ds_read_b128 v[35:38], v29 offset:544
	v_fma_mix_f32 v11, v53, v4, v11 op_sel:[0,1,0] op_sel_hi:[1,1,0]
	v_fma_mix_f32 v11, v54, v5, v11 op_sel_hi:[1,1,0]
	v_fma_mix_f32 v11, v13, v5, v11 op_sel:[0,1,0] op_sel_hi:[1,1,0]
	v_fma_mix_f32 v11, v55, v6, v11 op_sel_hi:[1,1,0]
	v_fma_mix_f32 v11, v56, v6, v11 op_sel:[0,1,0] op_sel_hi:[1,1,0]
	v_fma_mix_f32 v11, v61, v7, v11 op_sel_hi:[1,1,0]
	v_fma_mix_f32 v11, v9, v7, v11 op_sel:[0,1,0] op_sel_hi:[1,1,0]
	v_fma_mixlo_f16 v11, v11, v18, 0 op_sel:[0,1,0] op_sel_hi:[0,1,0]
	v_add_f16_e32 v60, v39, v11
	v_fma_mix_f32 v11, v62, v4, 0 op_sel_hi:[1,1,0]
	v_fma_mix_f32 v11, v63, v4, v11 op_sel:[0,1,0] op_sel_hi:[1,1,0]
	v_fma_mix_f32 v11, v64, v5, v11 op_sel_hi:[1,1,0]
	v_fma_mix_f32 v11, v14, v5, v11 op_sel:[0,1,0] op_sel_hi:[1,1,0]
	;; [unrolled: 2-line block ×4, first 2 shown]
	v_fma_mixlo_f16 v11, v11, v19, 0 op_sel_hi:[0,1,0]
	v_add_f16_e32 v57, v40, v11
	v_fma_mix_f32 v11, v68, v4, 0 op_sel_hi:[1,1,0]
	v_fma_mix_f32 v4, v69, v4, v11 op_sel:[0,1,0] op_sel_hi:[1,1,0]
	v_fma_mix_f32 v4, v70, v5, v4 op_sel_hi:[1,1,0]
	v_fma_mix_f32 v4, v15, v5, v4 op_sel:[0,1,0] op_sel_hi:[1,1,0]
	;; [unrolled: 2-line block ×4, first 2 shown]
	v_fma_mixlo_f16 v4, v4, v19, 0 op_sel:[0,1,0] op_sel_hi:[0,1,0]
	v_add_f16_e32 v58, v41, v4
	s_waitcnt lgkmcnt(0)
	v_fma_mix_f32 v4, v46, v35, 0 op_sel_hi:[1,1,0]
	v_fma_mix_f32 v4, v47, v35, v4 op_sel:[0,1,0] op_sel_hi:[1,1,0]
	v_fma_mix_f32 v4, v48, v36, v4 op_sel_hi:[1,1,0]
	v_fma_mix_f32 v4, v12, v36, v4 op_sel:[0,1,0] op_sel_hi:[1,1,0]
	v_add_co_u32 v12, vcc_lo, v22, s4
	v_fma_mix_f32 v4, v49, v37, v4 op_sel_hi:[1,1,0]
	v_fma_mix_f32 v4, v50, v37, v4 op_sel:[0,1,0] op_sel_hi:[1,1,0]
	v_fma_mix_f32 v4, v51, v38, v4 op_sel_hi:[1,1,0]
	v_fma_mix_f32 v4, v8, v38, v4 op_sel:[0,1,0] op_sel_hi:[1,1,0]
	v_fma_mixlo_f16 v4, v4, v18, 0 op_sel_hi:[0,1,0]
	v_add_f16_e32 v34, v42, v4
	v_fma_mix_f32 v4, v52, v35, 0 op_sel_hi:[1,1,0]
	v_fma_mix_f32 v4, v53, v35, v4 op_sel:[0,1,0] op_sel_hi:[1,1,0]
	v_fma_mix_f32 v4, v54, v36, v4 op_sel_hi:[1,1,0]
	v_fma_mix_f32 v4, v13, v36, v4 op_sel:[0,1,0] op_sel_hi:[1,1,0]
	v_add_co_ci_u32_e64 v13, null, s5, v23, vcc_lo
	v_fma_mix_f32 v4, v55, v37, v4 op_sel_hi:[1,1,0]
	v_fma_mix_f32 v4, v56, v37, v4 op_sel:[0,1,0] op_sel_hi:[1,1,0]
	v_fma_mix_f32 v4, v61, v38, v4 op_sel_hi:[1,1,0]
	v_fma_mix_f32 v4, v9, v38, v4 op_sel:[0,1,0] op_sel_hi:[1,1,0]
	v_fma_mixlo_f16 v4, v4, v18, 0 op_sel:[0,1,0] op_sel_hi:[0,1,0]
	v_add_f16_e32 v11, v43, v4
	v_fma_mix_f32 v4, v62, v35, 0 op_sel_hi:[1,1,0]
	v_fma_mix_f32 v4, v63, v35, v4 op_sel:[0,1,0] op_sel_hi:[1,1,0]
	v_fma_mix_f32 v4, v64, v36, v4 op_sel_hi:[1,1,0]
	v_fma_mix_f32 v4, v14, v36, v4 op_sel:[0,1,0] op_sel_hi:[1,1,0]
	;; [unrolled: 2-line block ×4, first 2 shown]
	global_load_dwordx4 v[7:10], v[12:13], off
	v_add_co_u32 v12, vcc_lo, v12, s4
	v_add_co_ci_u32_e64 v13, null, s5, v13, vcc_lo
	v_fma_mixlo_f16 v4, v4, v19, 0 op_sel_hi:[0,1,0]
	v_add_co_u32 v20, vcc_lo, v20, s2
	v_add_co_ci_u32_e64 v21, null, s3, v21, vcc_lo
	v_add_f16_e32 v6, v44, v4
	v_fma_mix_f32 v4, v68, v35, 0 op_sel_hi:[1,1,0]
	v_fma_mix_f32 v4, v69, v35, v4 op_sel:[0,1,0] op_sel_hi:[1,1,0]
	v_fma_mix_f32 v4, v70, v36, v4 op_sel_hi:[1,1,0]
	v_fma_mix_f32 v4, v15, v36, v4 op_sel:[0,1,0] op_sel_hi:[1,1,0]
	global_load_dwordx4 v[12:15], v[12:13], off
	v_fma_mix_f32 v4, v71, v37, v4 op_sel_hi:[1,1,0]
	v_fma_mix_f32 v4, v72, v37, v4 op_sel:[0,1,0] op_sel_hi:[1,1,0]
	v_fma_mix_f32 v4, v73, v38, v4 op_sel_hi:[1,1,0]
	v_fma_mix_f32 v4, v74, v38, v4 op_sel:[0,1,0] op_sel_hi:[1,1,0]
	v_fma_mixlo_f16 v4, v4, v19, 0 op_sel:[0,1,0] op_sel_hi:[0,1,0]
	v_add_f16_e32 v4, v45, v4
	s_waitcnt vmcnt(1)
	v_sub_nc_u32_sdwa v5, v7, v33 dst_sel:DWORD dst_unused:UNUSED_PAD src0_sel:BYTE_0 src1_sel:DWORD
	v_cvt_f32_i32_e32 v5, v5
	v_cvt_f16_f32_e32 v47, v5
	v_sub_nc_u32_sdwa v5, v7, v33 dst_sel:DWORD dst_unused:UNUSED_PAD src0_sel:BYTE_1 src1_sel:DWORD
	v_cvt_f32_i32_e32 v5, v5
	v_cvt_f16_f32_e32 v49, v5
	v_sub_nc_u32_sdwa v5, v7, v33 dst_sel:DWORD dst_unused:UNUSED_PAD src0_sel:BYTE_2 src1_sel:DWORD
	v_cvt_f32_i32_e32 v5, v5
	v_cvt_f16_f32_e32 v51, v5
	v_sub_nc_u32_sdwa v5, v7, v33 dst_sel:DWORD dst_unused:UNUSED_PAD src0_sel:BYTE_3 src1_sel:DWORD
	v_cvt_f32_i32_e32 v5, v5
	v_cvt_f16_f32_e32 v52, v5
	s_waitcnt vmcnt(0)
	v_sub_nc_u32_sdwa v5, v12, v33 dst_sel:DWORD dst_unused:UNUSED_PAD src0_sel:BYTE_0 src1_sel:DWORD
	v_cvt_f32_i32_e32 v5, v5
	v_cvt_f16_f32_e32 v53, v5
	v_sub_nc_u32_sdwa v5, v12, v33 dst_sel:DWORD dst_unused:UNUSED_PAD src0_sel:BYTE_1 src1_sel:DWORD
	v_cvt_f32_i32_e32 v5, v5
	v_cvt_f16_f32_e32 v54, v5
	v_sub_nc_u32_sdwa v5, v12, v33 dst_sel:DWORD dst_unused:UNUSED_PAD src0_sel:BYTE_2 src1_sel:DWORD
	v_cvt_f32_i32_e32 v5, v5
	v_cvt_f16_f32_e32 v55, v5
	v_sub_nc_u32_sdwa v5, v12, v33 dst_sel:DWORD dst_unused:UNUSED_PAD src0_sel:BYTE_3 src1_sel:DWORD
	v_cvt_f32_i32_e32 v5, v5
	v_cvt_f16_f32_e32 v56, v5
	v_sub_nc_u32_sdwa v5, v8, v32 dst_sel:DWORD dst_unused:UNUSED_PAD src0_sel:BYTE_0 src1_sel:DWORD
	v_cvt_f32_i32_e32 v5, v5
	v_cvt_f16_f32_e32 v41, v5
	v_sub_nc_u32_sdwa v5, v8, v32 dst_sel:DWORD dst_unused:UNUSED_PAD src0_sel:BYTE_1 src1_sel:DWORD
	v_cvt_f32_i32_e32 v5, v5
	v_cvt_f16_f32_e32 v42, v5
	v_sub_nc_u32_sdwa v5, v8, v32 dst_sel:DWORD dst_unused:UNUSED_PAD src0_sel:BYTE_2 src1_sel:DWORD
	v_cvt_f32_i32_e32 v5, v5
	v_cvt_f16_f32_e32 v43, v5
	v_sub_nc_u32_sdwa v5, v8, v32 dst_sel:DWORD dst_unused:UNUSED_PAD src0_sel:BYTE_3 src1_sel:DWORD
	v_cvt_f32_i32_e32 v5, v5
	v_cvt_f16_f32_e32 v44, v5
	;; [unrolled: 12-line block ×4, first 2 shown]
	v_sub_nc_u32_sdwa v5, v14, v31 dst_sel:DWORD dst_unused:UNUSED_PAD src0_sel:BYTE_0 src1_sel:DWORD
	v_cvt_f32_i32_e32 v5, v5
	v_cvt_f16_f32_e32 v37, v5
	v_sub_nc_u32_sdwa v5, v14, v31 dst_sel:DWORD dst_unused:UNUSED_PAD src0_sel:BYTE_1 src1_sel:DWORD
	v_cvt_f32_i32_e32 v5, v5
	v_cvt_f16_f32_e32 v38, v5
	v_sub_nc_u32_sdwa v5, v14, v31 dst_sel:DWORD dst_unused:UNUSED_PAD src0_sel:BYTE_2 src1_sel:DWORD
	v_cvt_f32_i32_e32 v5, v5
	v_cvt_f16_f32_e32 v39, v5
	v_sub_nc_u32_sdwa v5, v14, v31 dst_sel:DWORD dst_unused:UNUSED_PAD src0_sel:BYTE_3 src1_sel:DWORD
	v_fma_mix_f32 v14, v47, v0, 0 op_sel_hi:[1,1,0]
	v_cvt_f32_i32_e32 v5, v5
	v_fma_mix_f32 v14, v49, v0, v14 op_sel:[0,1,0] op_sel_hi:[1,1,0]
	v_cvt_f16_f32_e32 v40, v5
	v_sub_nc_u32_sdwa v5, v10, v30 dst_sel:DWORD dst_unused:UNUSED_PAD src0_sel:BYTE_0 src1_sel:DWORD
	v_fma_mix_f32 v14, v51, v1, v14 op_sel_hi:[1,1,0]
	v_cvt_f32_i32_e32 v5, v5
	v_fma_mix_f32 v14, v52, v1, v14 op_sel:[0,1,0] op_sel_hi:[1,1,0]
	v_cvt_f16_f32_e32 v31, v5
	v_sub_nc_u32_sdwa v5, v10, v30 dst_sel:DWORD dst_unused:UNUSED_PAD src0_sel:BYTE_1 src1_sel:DWORD
	v_fma_mix_f32 v14, v53, v2, v14 op_sel_hi:[1,1,0]
	v_fma_mix_f32 v22, v31, v0, 0 op_sel_hi:[1,1,0]
	v_cvt_f32_i32_e32 v5, v5
	v_fma_mix_f32 v14, v54, v2, v14 op_sel:[0,1,0] op_sel_hi:[1,1,0]
	v_cvt_f16_f32_e32 v13, v5
	v_sub_nc_u32_sdwa v5, v10, v30 dst_sel:DWORD dst_unused:UNUSED_PAD src0_sel:BYTE_2 src1_sel:DWORD
	v_fma_mix_f32 v14, v55, v3, v14 op_sel_hi:[1,1,0]
	v_cvt_f32_i32_e32 v5, v5
	v_fma_mix_f32 v14, v56, v3, v14 op_sel:[0,1,0] op_sel_hi:[1,1,0]
	v_cvt_f16_f32_e32 v12, v5
	v_sub_nc_u32_sdwa v5, v10, v30 dst_sel:DWORD dst_unused:UNUSED_PAD src0_sel:BYTE_3 src1_sel:DWORD
	v_fma_mixlo_f16 v14, v14, v18, 0 op_sel_hi:[0,1,0]
	v_cvt_f32_i32_e32 v5, v5
	v_add_f16_e32 v14, v75, v14
	v_cvt_f16_f32_e32 v10, v5
	v_sub_nc_u32_sdwa v5, v15, v30 dst_sel:DWORD dst_unused:UNUSED_PAD src0_sel:BYTE_0 src1_sel:DWORD
	v_cvt_f32_i32_e32 v5, v5
	v_cvt_f16_f32_e32 v9, v5
	v_sub_nc_u32_sdwa v5, v15, v30 dst_sel:DWORD dst_unused:UNUSED_PAD src0_sel:BYTE_1 src1_sel:DWORD
	v_cvt_f32_i32_e32 v5, v5
	v_cvt_f16_f32_e32 v8, v5
	v_sub_nc_u32_sdwa v5, v15, v30 dst_sel:DWORD dst_unused:UNUSED_PAD src0_sel:BYTE_2 src1_sel:DWORD
	v_cvt_f32_i32_e32 v5, v5
	v_cvt_f16_f32_e32 v7, v5
	v_sub_nc_u32_sdwa v5, v15, v30 dst_sel:DWORD dst_unused:UNUSED_PAD src0_sel:BYTE_3 src1_sel:DWORD
	v_fma_mix_f32 v15, v41, v0, 0 op_sel_hi:[1,1,0]
	v_cvt_f32_i32_e32 v5, v5
	v_fma_mix_f32 v15, v42, v0, v15 op_sel:[0,1,0] op_sel_hi:[1,1,0]
	v_cvt_f16_f32_e32 v5, v5
	v_fma_mix_f32 v15, v43, v1, v15 op_sel_hi:[1,1,0]
	v_fma_mix_f32 v15, v44, v1, v15 op_sel:[0,1,0] op_sel_hi:[1,1,0]
	v_fma_mix_f32 v15, v45, v2, v15 op_sel_hi:[1,1,0]
	v_fma_mix_f32 v15, v46, v2, v15 op_sel:[0,1,0] op_sel_hi:[1,1,0]
	;; [unrolled: 2-line block ×3, first 2 shown]
	v_fma_mixlo_f16 v15, v15, v18, 0 op_sel:[0,1,0] op_sel_hi:[0,1,0]
	v_add_f16_e32 v15, v76, v15
	v_pack_b32_f16 v15, v14, v15
	v_fma_mix_f32 v14, v32, v0, 0 op_sel_hi:[1,1,0]
	v_fma_mix_f32 v14, v33, v0, v14 op_sel:[0,1,0] op_sel_hi:[1,1,0]
	v_fma_mix_f32 v0, v13, v0, v22 op_sel:[0,1,0] op_sel_hi:[1,1,0]
	v_fma_mix_f32 v14, v35, v1, v14 op_sel_hi:[1,1,0]
	v_fma_mix_f32 v0, v12, v1, v0 op_sel_hi:[1,1,0]
	v_fma_mix_f32 v14, v36, v1, v14 op_sel:[0,1,0] op_sel_hi:[1,1,0]
	v_fma_mix_f32 v0, v10, v1, v0 op_sel:[0,1,0] op_sel_hi:[1,1,0]
	v_fma_mix_f32 v14, v37, v2, v14 op_sel_hi:[1,1,0]
	;; [unrolled: 4-line block ×3, first 2 shown]
	v_fma_mix_f32 v0, v7, v3, v0 op_sel_hi:[1,1,0]
	v_fma_mix_f32 v14, v40, v3, v14 op_sel:[0,1,0] op_sel_hi:[1,1,0]
	v_fma_mix_f32 v0, v5, v3, v0 op_sel:[0,1,0] op_sel_hi:[1,1,0]
	v_fma_mixlo_f16 v14, v14, v19, 0 op_sel_hi:[0,1,0]
	v_fma_mixlo_f16 v0, v0, v19, 0 op_sel:[0,1,0] op_sel_hi:[0,1,0]
	v_add_f16_e32 v14, v77, v14
	v_add_f16_e32 v0, v78, v0
	v_pack_b32_f16 v14, v14, v0
	ds_read_b128 v[0:3], v29 offset:304
	s_waitcnt lgkmcnt(0)
	v_fma_mix_f32 v22, v47, v0, 0 op_sel_hi:[1,1,0]
	v_fma_mix_f32 v23, v41, v0, 0 op_sel_hi:[1,1,0]
	;; [unrolled: 1-line block ×3, first 2 shown]
	v_fma_mix_f32 v22, v49, v0, v22 op_sel:[0,1,0] op_sel_hi:[1,1,0]
	v_fma_mix_f32 v23, v42, v0, v23 op_sel:[0,1,0] op_sel_hi:[1,1,0]
	v_fma_mix_f32 v22, v51, v1, v22 op_sel_hi:[1,1,0]
	v_fma_mix_f32 v23, v43, v1, v23 op_sel_hi:[1,1,0]
	v_fma_mix_f32 v22, v52, v1, v22 op_sel:[0,1,0] op_sel_hi:[1,1,0]
	v_fma_mix_f32 v23, v44, v1, v23 op_sel:[0,1,0] op_sel_hi:[1,1,0]
	v_fma_mix_f32 v22, v53, v2, v22 op_sel_hi:[1,1,0]
	v_fma_mix_f32 v23, v45, v2, v23 op_sel_hi:[1,1,0]
	;; [unrolled: 4-line block ×3, first 2 shown]
	v_fma_mix_f32 v22, v56, v3, v22 op_sel:[0,1,0] op_sel_hi:[1,1,0]
	v_fma_mix_f32 v23, v50, v3, v23 op_sel:[0,1,0] op_sel_hi:[1,1,0]
	v_fma_mixlo_f16 v22, v22, v18, 0 op_sel_hi:[0,1,0]
	v_fma_mixlo_f16 v23, v23, v18, 0 op_sel:[0,1,0] op_sel_hi:[0,1,0]
	v_add_f16_e32 v22, v59, v22
	v_add_f16_e32 v23, v60, v23
	v_pack_b32_f16 v23, v22, v23
	v_fma_mix_f32 v22, v32, v0, 0 op_sel_hi:[1,1,0]
	v_fma_mix_f32 v22, v33, v0, v22 op_sel:[0,1,0] op_sel_hi:[1,1,0]
	v_fma_mix_f32 v0, v13, v0, v30 op_sel:[0,1,0] op_sel_hi:[1,1,0]
	v_fma_mix_f32 v22, v35, v1, v22 op_sel_hi:[1,1,0]
	v_fma_mix_f32 v0, v12, v1, v0 op_sel_hi:[1,1,0]
	v_fma_mix_f32 v22, v36, v1, v22 op_sel:[0,1,0] op_sel_hi:[1,1,0]
	v_fma_mix_f32 v0, v10, v1, v0 op_sel:[0,1,0] op_sel_hi:[1,1,0]
	v_fma_mix_f32 v22, v37, v2, v22 op_sel_hi:[1,1,0]
	;; [unrolled: 4-line block ×3, first 2 shown]
	v_fma_mix_f32 v0, v7, v3, v0 op_sel_hi:[1,1,0]
	v_fma_mix_f32 v22, v40, v3, v22 op_sel:[0,1,0] op_sel_hi:[1,1,0]
	v_fma_mix_f32 v0, v5, v3, v0 op_sel:[0,1,0] op_sel_hi:[1,1,0]
	v_fma_mixlo_f16 v22, v22, v19, 0 op_sel_hi:[0,1,0]
	v_fma_mixlo_f16 v0, v0, v19, 0 op_sel:[0,1,0] op_sel_hi:[0,1,0]
	v_add_f16_e32 v22, v57, v22
	v_add_f16_e32 v0, v58, v0
	v_pack_b32_f16 v22, v22, v0
	ds_read_b128 v[0:3], v29 offset:560
	s_waitcnt lgkmcnt(0)
	v_fma_mix_f32 v29, v47, v0, 0 op_sel_hi:[1,1,0]
	v_fma_mix_f32 v30, v41, v0, 0 op_sel_hi:[1,1,0]
	v_fma_mix_f32 v29, v49, v0, v29 op_sel:[0,1,0] op_sel_hi:[1,1,0]
	v_fma_mix_f32 v30, v42, v0, v30 op_sel:[0,1,0] op_sel_hi:[1,1,0]
	v_fma_mix_f32 v29, v51, v1, v29 op_sel_hi:[1,1,0]
	v_fma_mix_f32 v30, v43, v1, v30 op_sel_hi:[1,1,0]
	v_fma_mix_f32 v29, v52, v1, v29 op_sel:[0,1,0] op_sel_hi:[1,1,0]
	v_fma_mix_f32 v30, v44, v1, v30 op_sel:[0,1,0] op_sel_hi:[1,1,0]
	;; [unrolled: 4-line block ×4, first 2 shown]
	v_fma_mixlo_f16 v29, v29, v18, 0 op_sel_hi:[0,1,0]
	v_fma_mixlo_f16 v30, v30, v18, 0 op_sel:[0,1,0] op_sel_hi:[0,1,0]
	v_add_f16_e32 v29, v34, v29
	v_add_f16_e32 v11, v11, v30
	v_pack_b32_f16 v34, v29, v11
	v_fma_mix_f32 v11, v32, v0, 0 op_sel_hi:[1,1,0]
	v_fma_mix_f32 v11, v33, v0, v11 op_sel:[0,1,0] op_sel_hi:[1,1,0]
	v_fma_mix_f32 v11, v35, v1, v11 op_sel_hi:[1,1,0]
	v_fma_mix_f32 v11, v36, v1, v11 op_sel:[0,1,0] op_sel_hi:[1,1,0]
	;; [unrolled: 2-line block ×4, first 2 shown]
	v_fma_mixlo_f16 v11, v11, v19, 0 op_sel_hi:[0,1,0]
	v_add_f16_e32 v6, v6, v11
	v_fma_mix_f32 v11, v31, v0, 0 op_sel_hi:[1,1,0]
	v_fma_mix_f32 v0, v13, v0, v11 op_sel:[0,1,0] op_sel_hi:[1,1,0]
	v_fma_mix_f32 v0, v12, v1, v0 op_sel_hi:[1,1,0]
	v_fma_mix_f32 v0, v10, v1, v0 op_sel:[0,1,0] op_sel_hi:[1,1,0]
	;; [unrolled: 2-line block ×4, first 2 shown]
	v_fma_mixlo_f16 v0, v0, v19, 0 op_sel:[0,1,0] op_sel_hi:[0,1,0]
	v_add_f16_e32 v0, v4, v0
	v_pack_b32_f16 v35, v6, v0
	s_cbranch_scc1 .LBB26_14
.LBB26_12:                              ; =>This Inner Loop Header: Depth=1
	s_cmp_lg_u32 s18, s8
	s_cbranch_scc1 .LBB26_11
; %bb.13:                               ;   in Loop: Header=BB26_12 Depth=1
	s_add_i32 s17, s17, 1
	s_add_i32 s8, s8, s16
	s_mul_i32 s1, s17, s0
	s_ashr_i32 s9, s1, 31
	v_add_nc_u32_e32 v2, s1, v16
	s_lshr_b32 s9, s9, 30
	s_add_i32 s9, s1, s9
	v_ashrrev_i32_e32 v3, 31, v2
	s_ashr_i32 s9, s9, 2
	v_add_nc_u32_e32 v0, s9, v24
	v_lshlrev_b64 v[2:3], 1, v[2:3]
	v_ashrrev_i32_e32 v1, 31, v0
	v_lshlrev_b64 v[0:1], 2, v[0:1]
	v_add_co_u32 v0, vcc_lo, s10, v0
	v_add_co_ci_u32_e64 v1, null, s11, v1, vcc_lo
	global_load_dword v4, v[0:1], off
	v_add_co_u32 v0, vcc_lo, s12, v2
	v_add_co_ci_u32_e64 v1, null, s13, v3, vcc_lo
	global_load_dwordx2 v[18:19], v[0:1], off
	s_waitcnt vmcnt(1)
	v_and_b32_e32 v25, 0xff, v4
	v_bfe_u32 v26, v4, 8, 8
	v_bfe_u32 v27, v4, 16, 8
	v_lshrrev_b32_e32 v28, 24, v4
	s_branch .LBB26_11
.LBB26_14:
	v_mad_u64_u32 v[0:1], null, s7, s0, v[16:17]
	s_mov_b32 s1, 0
	v_ashrrev_i32_e32 v1, 31, v0
	v_lshlrev_b64 v[1:2], 1, v[0:1]
	v_add_co_u32 v1, vcc_lo, s14, v1
	v_add_co_ci_u32_e64 v2, null, s15, v2, vcc_lo
	global_load_dword v4, v[1:2], off
.LBB26_15:                              ; =>This Inner Loop Header: Depth=1
	s_waitcnt vmcnt(0)
	v_pk_add_f16 v3, v15, v4
	global_atomic_cmpswap v3, v[1:2], v[3:4], off glc
	s_waitcnt vmcnt(0)
	v_cmp_eq_u32_e32 vcc_lo, v4, v3
	v_mov_b32_e32 v4, v3
	s_or_b32 s1, vcc_lo, s1
	s_andn2_b32 exec_lo, exec_lo, s1
	s_cbranch_execnz .LBB26_15
; %bb.16:
	s_or_b32 exec_lo, exec_lo, s1
	global_load_dword v4, v[1:2], off offset:4
	s_mov_b32 s1, 0
.LBB26_17:                              ; =>This Inner Loop Header: Depth=1
	s_waitcnt vmcnt(0)
	v_pk_add_f16 v3, v14, v4
	global_atomic_cmpswap v3, v[1:2], v[3:4], off offset:4 glc
	s_waitcnt vmcnt(0)
	v_cmp_eq_u32_e32 vcc_lo, v4, v3
	v_mov_b32_e32 v4, v3
	s_or_b32 s1, vcc_lo, s1
	s_andn2_b32 exec_lo, exec_lo, s1
	s_cbranch_execnz .LBB26_17
; %bb.18:
	s_or_b32 exec_lo, exec_lo, s1
	v_add_nc_u32_e32 v0, s0, v0
	s_mov_b32 s1, 0
	v_ashrrev_i32_e32 v1, 31, v0
	v_lshlrev_b64 v[1:2], 1, v[0:1]
	v_add_co_u32 v1, vcc_lo, s14, v1
	v_add_co_ci_u32_e64 v2, null, s15, v2, vcc_lo
	global_load_dword v4, v[1:2], off
.LBB26_19:                              ; =>This Inner Loop Header: Depth=1
	s_waitcnt vmcnt(0)
	v_pk_add_f16 v3, v23, v4
	global_atomic_cmpswap v3, v[1:2], v[3:4], off glc
	s_waitcnt vmcnt(0)
	v_cmp_eq_u32_e32 vcc_lo, v4, v3
	v_mov_b32_e32 v4, v3
	s_or_b32 s1, vcc_lo, s1
	s_andn2_b32 exec_lo, exec_lo, s1
	s_cbranch_execnz .LBB26_19
; %bb.20:
	s_or_b32 exec_lo, exec_lo, s1
	global_load_dword v4, v[1:2], off offset:4
	s_mov_b32 s1, 0
.LBB26_21:                              ; =>This Inner Loop Header: Depth=1
	s_waitcnt vmcnt(0)
	v_pk_add_f16 v3, v22, v4
	global_atomic_cmpswap v3, v[1:2], v[3:4], off offset:4 glc
	s_waitcnt vmcnt(0)
	v_cmp_eq_u32_e32 vcc_lo, v4, v3
	v_mov_b32_e32 v4, v3
	s_or_b32 s1, vcc_lo, s1
	s_andn2_b32 exec_lo, exec_lo, s1
	s_cbranch_execnz .LBB26_21
; %bb.22:
	s_or_b32 exec_lo, exec_lo, s1
	v_add_nc_u32_e32 v0, s0, v0
	s_mov_b32 s0, 0
	v_ashrrev_i32_e32 v1, 31, v0
	v_lshlrev_b64 v[0:1], 1, v[0:1]
	v_add_co_u32 v0, vcc_lo, s14, v0
	v_add_co_ci_u32_e64 v1, null, s15, v1, vcc_lo
	global_load_dword v3, v[0:1], off
.LBB26_23:                              ; =>This Inner Loop Header: Depth=1
	s_waitcnt vmcnt(0)
	v_pk_add_f16 v2, v34, v3
	global_atomic_cmpswap v2, v[0:1], v[2:3], off glc
	s_waitcnt vmcnt(0)
	v_cmp_eq_u32_e32 vcc_lo, v3, v2
	v_mov_b32_e32 v3, v2
	s_or_b32 s0, vcc_lo, s0
	s_andn2_b32 exec_lo, exec_lo, s0
	s_cbranch_execnz .LBB26_23
; %bb.24:
	s_or_b32 exec_lo, exec_lo, s0
	global_load_dword v3, v[0:1], off offset:4
	s_mov_b32 s0, 0
.LBB26_25:                              ; =>This Inner Loop Header: Depth=1
	s_waitcnt vmcnt(0)
	v_pk_add_f16 v2, v35, v3
	global_atomic_cmpswap v2, v[0:1], v[2:3], off offset:4 glc
	s_waitcnt vmcnt(0)
	v_cmp_eq_u32_e32 vcc_lo, v3, v2
	v_mov_b32_e32 v3, v2
	s_or_b32 s0, vcc_lo, s0
	s_andn2_b32 exec_lo, exec_lo, s0
	s_cbranch_execnz .LBB26_25
.LBB26_26:
	s_endpgm
	.section	.rodata,"a",@progbits
	.p2align	6, 0x0
	.amdhsa_kernel _ZN4vllm4gptq33gemm_half_q_half_gptq_8bit_kernelILb1ELi3EEEvPK6__halfPKjS6_S4_PS2_iiiibPKi
		.amdhsa_group_segment_fixed_size 768
		.amdhsa_private_segment_fixed_size 0
		.amdhsa_kernarg_size 72
		.amdhsa_user_sgpr_count 6
		.amdhsa_user_sgpr_private_segment_buffer 1
		.amdhsa_user_sgpr_dispatch_ptr 0
		.amdhsa_user_sgpr_queue_ptr 0
		.amdhsa_user_sgpr_kernarg_segment_ptr 1
		.amdhsa_user_sgpr_dispatch_id 0
		.amdhsa_user_sgpr_flat_scratch_init 0
		.amdhsa_user_sgpr_private_segment_size 0
		.amdhsa_wavefront_size32 1
		.amdhsa_uses_dynamic_stack 0
		.amdhsa_system_sgpr_private_segment_wavefront_offset 0
		.amdhsa_system_sgpr_workgroup_id_x 1
		.amdhsa_system_sgpr_workgroup_id_y 1
		.amdhsa_system_sgpr_workgroup_id_z 1
		.amdhsa_system_sgpr_workgroup_info 0
		.amdhsa_system_vgpr_workitem_id 0
		.amdhsa_next_free_vgpr 82
		.amdhsa_next_free_sgpr 24
		.amdhsa_reserve_vcc 1
		.amdhsa_reserve_flat_scratch 0
		.amdhsa_float_round_mode_32 0
		.amdhsa_float_round_mode_16_64 0
		.amdhsa_float_denorm_mode_32 3
		.amdhsa_float_denorm_mode_16_64 3
		.amdhsa_dx10_clamp 1
		.amdhsa_ieee_mode 1
		.amdhsa_fp16_overflow 0
		.amdhsa_workgroup_processor_mode 1
		.amdhsa_memory_ordered 1
		.amdhsa_forward_progress 1
		.amdhsa_shared_vgpr_count 0
		.amdhsa_exception_fp_ieee_invalid_op 0
		.amdhsa_exception_fp_denorm_src 0
		.amdhsa_exception_fp_ieee_div_zero 0
		.amdhsa_exception_fp_ieee_overflow 0
		.amdhsa_exception_fp_ieee_underflow 0
		.amdhsa_exception_fp_ieee_inexact 0
		.amdhsa_exception_int_div_zero 0
	.end_amdhsa_kernel
	.section	.text._ZN4vllm4gptq33gemm_half_q_half_gptq_8bit_kernelILb1ELi3EEEvPK6__halfPKjS6_S4_PS2_iiiibPKi,"axG",@progbits,_ZN4vllm4gptq33gemm_half_q_half_gptq_8bit_kernelILb1ELi3EEEvPK6__halfPKjS6_S4_PS2_iiiibPKi,comdat
.Lfunc_end26:
	.size	_ZN4vllm4gptq33gemm_half_q_half_gptq_8bit_kernelILb1ELi3EEEvPK6__halfPKjS6_S4_PS2_iiiibPKi, .Lfunc_end26-_ZN4vllm4gptq33gemm_half_q_half_gptq_8bit_kernelILb1ELi3EEEvPK6__halfPKjS6_S4_PS2_iiiibPKi
                                        ; -- End function
	.set _ZN4vllm4gptq33gemm_half_q_half_gptq_8bit_kernelILb1ELi3EEEvPK6__halfPKjS6_S4_PS2_iiiibPKi.num_vgpr, 82
	.set _ZN4vllm4gptq33gemm_half_q_half_gptq_8bit_kernelILb1ELi3EEEvPK6__halfPKjS6_S4_PS2_iiiibPKi.num_agpr, 0
	.set _ZN4vllm4gptq33gemm_half_q_half_gptq_8bit_kernelILb1ELi3EEEvPK6__halfPKjS6_S4_PS2_iiiibPKi.numbered_sgpr, 24
	.set _ZN4vllm4gptq33gemm_half_q_half_gptq_8bit_kernelILb1ELi3EEEvPK6__halfPKjS6_S4_PS2_iiiibPKi.num_named_barrier, 0
	.set _ZN4vllm4gptq33gemm_half_q_half_gptq_8bit_kernelILb1ELi3EEEvPK6__halfPKjS6_S4_PS2_iiiibPKi.private_seg_size, 0
	.set _ZN4vllm4gptq33gemm_half_q_half_gptq_8bit_kernelILb1ELi3EEEvPK6__halfPKjS6_S4_PS2_iiiibPKi.uses_vcc, 1
	.set _ZN4vllm4gptq33gemm_half_q_half_gptq_8bit_kernelILb1ELi3EEEvPK6__halfPKjS6_S4_PS2_iiiibPKi.uses_flat_scratch, 0
	.set _ZN4vllm4gptq33gemm_half_q_half_gptq_8bit_kernelILb1ELi3EEEvPK6__halfPKjS6_S4_PS2_iiiibPKi.has_dyn_sized_stack, 0
	.set _ZN4vllm4gptq33gemm_half_q_half_gptq_8bit_kernelILb1ELi3EEEvPK6__halfPKjS6_S4_PS2_iiiibPKi.has_recursion, 0
	.set _ZN4vllm4gptq33gemm_half_q_half_gptq_8bit_kernelILb1ELi3EEEvPK6__halfPKjS6_S4_PS2_iiiibPKi.has_indirect_call, 0
	.section	.AMDGPU.csdata,"",@progbits
; Kernel info:
; codeLenInByte = 7740
; TotalNumSgprs: 26
; NumVgprs: 82
; ScratchSize: 0
; MemoryBound: 0
; FloatMode: 240
; IeeeMode: 1
; LDSByteSize: 768 bytes/workgroup (compile time only)
; SGPRBlocks: 0
; VGPRBlocks: 10
; NumSGPRsForWavesPerEU: 26
; NumVGPRsForWavesPerEU: 82
; Occupancy: 10
; WaveLimiterHint : 0
; COMPUTE_PGM_RSRC2:SCRATCH_EN: 0
; COMPUTE_PGM_RSRC2:USER_SGPR: 6
; COMPUTE_PGM_RSRC2:TRAP_HANDLER: 0
; COMPUTE_PGM_RSRC2:TGID_X_EN: 1
; COMPUTE_PGM_RSRC2:TGID_Y_EN: 1
; COMPUTE_PGM_RSRC2:TGID_Z_EN: 1
; COMPUTE_PGM_RSRC2:TIDIG_COMP_CNT: 0
	.section	.text._ZN4vllm4gptq33gemm_half_q_half_gptq_2bit_kernelILb1ELi4EEEvPK6__halfPKjS6_S4_PS2_iiiibPKi,"axG",@progbits,_ZN4vllm4gptq33gemm_half_q_half_gptq_2bit_kernelILb1ELi4EEEvPK6__halfPKjS6_S4_PS2_iiiibPKi,comdat
	.protected	_ZN4vllm4gptq33gemm_half_q_half_gptq_2bit_kernelILb1ELi4EEEvPK6__halfPKjS6_S4_PS2_iiiibPKi ; -- Begin function _ZN4vllm4gptq33gemm_half_q_half_gptq_2bit_kernelILb1ELi4EEEvPK6__halfPKjS6_S4_PS2_iiiibPKi
	.globl	_ZN4vllm4gptq33gemm_half_q_half_gptq_2bit_kernelILb1ELi4EEEvPK6__halfPKjS6_S4_PS2_iiiibPKi
	.p2align	8
	.type	_ZN4vllm4gptq33gemm_half_q_half_gptq_2bit_kernelILb1ELi4EEEvPK6__halfPKjS6_S4_PS2_iiiibPKi,@function
_ZN4vllm4gptq33gemm_half_q_half_gptq_2bit_kernelILb1ELi4EEEvPK6__halfPKjS6_S4_PS2_iiiibPKi: ; @_ZN4vllm4gptq33gemm_half_q_half_gptq_2bit_kernelILb1ELi4EEEvPK6__halfPKjS6_S4_PS2_iiiibPKi
; %bb.0:
	s_load_dwordx4 s[0:3], s[4:5], 0x2c
	s_lshl_b32 s18, s8, 7
	s_lshl_b32 s7, s7, 2
	s_add_i32 s8, s18, 0x80
	s_mov_b32 s20, exec_lo
	v_cvt_f64_u32_e32 v[1:2], s8
	s_load_dwordx8 s[8:15], s[4:5], 0x8
	s_waitcnt lgkmcnt(0)
	v_cvt_f64_i32_e32 v[3:4], s1
	v_min_f64 v[1:2], v[1:2], v[3:4]
	v_cvt_i32_f64_e32 v2, v[1:2]
	v_add_nc_u32_e32 v1, s18, v0
	v_readfirstlane_b32 s19, v2
	v_cmpx_lt_u32_e64 v1, v2
	s_cbranch_execz .LBB27_10
; %bb.1:
	s_clause 0x1
	s_load_dwordx2 s[16:17], s[4:5], 0x40
	s_load_dwordx2 s[4:5], s[4:5], 0x0
	v_mov_b32_e32 v2, 0
	v_lshlrev_b64 v[3:4], 2, v[1:2]
	v_mov_b32_e32 v6, v2
	v_mov_b32_e32 v5, v1
	s_waitcnt lgkmcnt(0)
	v_add_co_u32 v3, vcc_lo, s16, v3
	v_add_co_ci_u32_e64 v4, null, s17, v4, vcc_lo
	s_cmp_lg_u64 s[16:17], 0
	s_cselect_b32 s21, -1, 0
	s_cmp_eq_u64 s[16:17], 0
	s_cbranch_scc1 .LBB27_3
; %bb.2:
	global_load_dword v5, v[3:4], off
	s_waitcnt vmcnt(0)
	v_ashrrev_i32_e32 v6, 31, v5
.LBB27_3:
	s_mul_i32 s16, s7, s1
	v_lshlrev_b64 v[5:6], 1, v[5:6]
	s_ashr_i32 s17, s16, 31
	v_cndmask_b32_e64 v8, 0, 1, s21
	s_lshl_b64 s[22:23], s[16:17], 1
	v_lshlrev_b32_e32 v7, 1, v0
	s_add_u32 s17, s4, s22
	s_addc_u32 s22, s5, s23
	v_add_co_u32 v5, vcc_lo, s17, v5
	v_add_co_ci_u32_e64 v6, null, s22, v6, vcc_lo
	s_andn2_b32 vcc_lo, exec_lo, s21
	global_load_ushort v9, v[5:6], off
	v_mov_b32_e32 v6, v2
	v_mov_b32_e32 v5, v1
	s_waitcnt vmcnt(0)
	ds_write_b16 v7, v9
	s_cbranch_vccnz .LBB27_5
; %bb.4:
	global_load_dword v5, v[3:4], off
	s_waitcnt vmcnt(0)
	v_ashrrev_i32_e32 v6, 31, v5
.LBB27_5:
	s_add_i32 s16, s16, s1
	v_lshlrev_b64 v[5:6], 1, v[5:6]
	s_ashr_i32 s17, s16, 31
	s_lshl_b64 s[22:23], s[16:17], 1
	s_add_u32 s17, s4, s22
	s_addc_u32 s21, s5, s23
	v_add_co_u32 v5, vcc_lo, s17, v5
	v_add_co_ci_u32_e64 v6, null, s21, v6, vcc_lo
	v_cmp_ne_u32_e32 vcc_lo, 1, v8
	global_load_ushort v9, v[5:6], off
	v_mov_b32_e32 v6, v2
	v_mov_b32_e32 v5, v1
	s_waitcnt vmcnt(0)
	ds_write_b16 v7, v9 offset:256
	s_cbranch_vccnz .LBB27_7
; %bb.6:
	global_load_dword v5, v[3:4], off
	s_waitcnt vmcnt(0)
	v_ashrrev_i32_e32 v6, 31, v5
.LBB27_7:
	s_add_i32 s16, s16, s1
	v_lshlrev_b64 v[5:6], 1, v[5:6]
	s_ashr_i32 s17, s16, 31
	s_lshl_b64 s[22:23], s[16:17], 1
	s_add_u32 s17, s4, s22
	s_addc_u32 s21, s5, s23
	v_add_co_u32 v5, vcc_lo, s17, v5
	v_add_co_ci_u32_e64 v6, null, s21, v6, vcc_lo
	v_cmp_ne_u32_e32 vcc_lo, 1, v8
	global_load_ushort v5, v[5:6], off
	s_waitcnt vmcnt(0)
	ds_write_b16 v7, v5 offset:512
	s_cbranch_vccnz .LBB27_9
; %bb.8:
	global_load_dword v1, v[3:4], off
	s_waitcnt vmcnt(0)
	v_ashrrev_i32_e32 v2, 31, v1
.LBB27_9:
	s_add_i32 s16, s16, s1
	v_lshlrev_b64 v[1:2], 1, v[1:2]
	s_ashr_i32 s17, s16, 31
	s_lshl_b64 s[16:17], s[16:17], 1
	s_add_u32 s4, s4, s16
	s_addc_u32 s5, s5, s17
	v_add_co_u32 v1, vcc_lo, s4, v1
	v_add_co_ci_u32_e64 v2, null, s5, v2, vcc_lo
	global_load_ushort v1, v[1:2], off
	s_waitcnt vmcnt(0)
	ds_write_b16 v7, v1 offset:768
.LBB27_10:
	s_or_b32 exec_lo, exec_lo, s20
	v_lshlrev_b32_e32 v1, 2, v0
	s_mov_b32 s4, exec_lo
	v_lshl_add_u32 v1, s6, 9, v1
	v_cmpx_gt_i32_e64 s0, v1
	s_cbranch_execz .LBB27_32
; %bb.11:
	s_abs_i32 s5, s2
	v_mov_b32_e32 v25, 0
	v_cvt_f32_u32_e32 v2, s5
	v_mov_b32_e32 v23, 0
	v_mov_b32_e32 v22, 0
	;; [unrolled: 1-line block ×4, first 2 shown]
	v_rcp_iflag_f32_e32 v2, v2
	v_mov_b32_e32 v19, 0
	v_mov_b32_e32 v18, 0
	;; [unrolled: 1-line block ×3, first 2 shown]
	s_cmp_ge_i32 s18, s19
	s_mov_b32 s4, 0
	s_waitcnt lgkmcnt(0)
	s_barrier
	buffer_gl0_inv
	v_mul_f32_e32 v2, 0x4f7ffffe, v2
	v_cvt_u32_f32_e32 v2, v2
	v_readfirstlane_b32 s6, v2
	s_cbranch_scc1 .LBB27_16
; %bb.12:
	s_sub_i32 s16, 0, s5
	s_abs_i32 s17, s1
	s_mul_i32 s16, s16, s6
	s_ashr_i32 s1, s1, 31
	s_mul_hi_u32 s16, s6, s16
	s_ashr_i32 s2, s2, 31
	s_add_i32 s6, s6, s16
	s_xor_b32 s1, s1, s2
	s_mul_hi_u32 s6, s17, s6
	v_lshlrev_b32_e32 v8, 3, v0
	s_mul_i32 s16, s6, s5
	v_mov_b32_e32 v17, 0
	s_sub_i32 s2, s17, s16
	s_add_i32 s16, s6, 1
	s_sub_i32 s17, s2, s5
	s_cmp_ge_u32 s2, s5
	v_and_b32_e32 v26, 24, v8
	s_cselect_b32 s6, s16, s6
	s_cselect_b32 s2, s17, s2
	s_add_i32 s16, s6, 1
	s_cmp_ge_u32 s2, s5
	v_mov_b32_e32 v0, 0x10001
	s_cselect_b32 s2, s16, s6
	v_mov_b32_e32 v18, 0
	s_xor_b32 s2, s2, s1
	v_mov_b32_e32 v19, 0
	s_sub_i32 s5, s2, s1
	s_bitcmp1_b32 s3, 0
	v_cvt_f32_u32_e32 v2, s5
	s_cselect_b32 s2, -1, 0
	s_sub_i32 s3, 0, s5
	s_xor_b32 s20, s2, -1
	v_mov_b32_e32 v20, 0
	v_rcp_iflag_f32_e32 v2, v2
	v_mov_b32_e32 v21, 0
	v_mov_b32_e32 v22, 0
	;; [unrolled: 1-line block ×4, first 2 shown]
	s_mov_b32 s16, 0x10001
	s_mov_b32 s17, 0x30003
	v_mul_f32_e32 v2, 0x4f7ffffe, v2
	v_cvt_u32_f32_e32 v2, v2
	v_readfirstlane_b32 s1, v2
	v_ashrrev_i32_e32 v2, 31, v1
	s_mul_i32 s3, s3, s1
	v_lshrrev_b32_e32 v3, 28, v2
	s_mul_hi_u32 s3, s1, s3
	s_add_i32 s1, s1, s3
	v_add_nc_u32_e32 v3, v1, v3
	s_mul_hi_u32 s1, s18, s1
	s_mul_i32 s3, s1, s5
	s_sub_i32 s2, s18, s3
	s_add_i32 s3, s1, 1
	s_sub_i32 s6, s2, s5
	s_cmp_ge_u32 s2, s5
	v_ashrrev_i32_e32 v24, 4, v3
	s_cselect_b32 s1, s3, s1
	s_cselect_b32 s2, s6, s2
	s_add_i32 s3, s1, 1
	s_cmp_ge_u32 s2, s5
	s_cselect_b32 s6, s3, s1
	s_mul_i32 s1, s6, s0
	s_ashr_i32 s2, s1, 31
	v_add_nc_u32_e32 v5, s1, v1
	s_lshr_b32 s2, s2, 28
	s_add_i32 s2, s1, s2
	s_lshr_b32 s1, s18, 4
	s_ashr_i32 s2, s2, 4
	v_ashrrev_i32_e32 v6, 31, v5
	v_add_nc_u32_e32 v3, s2, v24
	s_mul_i32 s2, s0, s1
	s_ashr_i32 s1, s0, 31
	s_ashr_i32 s3, s2, 31
	v_ashrrev_i32_e32 v4, 31, v3
	s_lshl_b64 s[2:3], s[2:3], 2
	v_lshlrev_b64 v[3:4], 2, v[3:4]
	v_add_co_u32 v3, vcc_lo, s10, v3
	v_add_co_ci_u32_e64 v4, null, s11, v4, vcc_lo
	global_load_dword v7, v[3:4], off
	v_lshlrev_b64 v[3:4], 1, v[5:6]
	v_lshlrev_b64 v[5:6], 2, v[1:2]
	v_cndmask_b32_e64 v2, 0, 1, s20
	s_add_i32 s20, s5, s18
	s_add_u32 s8, s8, s2
	s_addc_u32 s9, s9, s3
	v_add_co_u32 v3, vcc_lo, s12, v3
	v_add_co_ci_u32_e64 v4, null, s13, v4, vcc_lo
	v_add_co_u32 v5, vcc_lo, s8, v5
	v_add_co_ci_u32_e64 v6, null, s9, v6, vcc_lo
	global_load_dwordx2 v[3:4], v[3:4], off
	v_add_co_u32 v5, vcc_lo, v5, 8
	v_add_co_ci_u32_e64 v6, null, 0, v6, vcc_lo
	s_lshl_b64 s[2:3], s[0:1], 2
	s_mov_b32 s1, 0xc000c
	s_mov_b32 s8, 0x300030
	;; [unrolled: 1-line block ×3, first 2 shown]
	s_waitcnt vmcnt(1)
	v_lshrrev_b32_e32 v8, v8, v7
	v_bfe_u32 v27, v7, v26, 2
	v_bfe_u32 v28, v8, 2, 2
	;; [unrolled: 1-line block ×4, first 2 shown]
	s_branch .LBB27_14
.LBB27_13:                              ;   in Loop: Header=BB27_14 Depth=1
	global_load_dwordx4 v[31:34], v[5:6], off offset:-8
	v_add_nc_u32_e32 v8, v28, v2
	v_mov_b32_e32 v15, s4
	v_add_nc_u32_e32 v7, v27, v2
	v_add_nc_u32_e32 v9, v29, v2
	;; [unrolled: 1-line block ×3, first 2 shown]
	v_cvt_f32_i32_e32 v12, v8
	ds_read2_b32 v[39:40], v15 offset1:1
	ds_read2_b32 v[62:63], v15 offset0:64 offset1:65
	v_cvt_f32_i32_e32 v11, v7
	v_and_b32_e32 v8, 0x1bff, v8
	v_cvt_f32_i32_e32 v13, v9
	v_cvt_f16_f32_e32 v47, v12
	v_and_b32_e32 v7, 0x1bff, v7
	v_and_b32_e32 v9, 0x1bff, v9
	v_cvt_f32_i32_e32 v14, v10
	v_cvt_f16_f32_e32 v46, v11
	v_mad_u32_u24 v8, v8, s16, 0xe400e400
	v_cvt_f16_f32_e32 v48, v13
	v_and_b32_e32 v16, 0x1bff, v10
	v_mad_u32_u24 v10, v7, s16, 0xe400e400
	v_mad_u32_u24 v7, v9, s16, 0xe400e400
	v_cvt_f16_f32_e32 v49, v14
	v_sub_f16_e32 v35, 0xdc00, v46
	v_mad_u32_u24 v13, v16, s16, 0xe400e400
	v_add_co_u32 v5, vcc_lo, v5, s2
	v_sub_f16_e32 v54, 0xdc00, v49
	v_add_co_ci_u32_e64 v6, null, s3, v6, vcc_lo
	s_add_i32 s18, s18, 16
	s_add_i32 s4, s4, 32
	v_mul_u32_u24_sdwa v16, v54, v0 dst_sel:DWORD dst_unused:UNUSED_PAD src0_sel:WORD_0 src1_sel:DWORD
	s_cmp_ge_i32 s18, s19
	s_waitcnt vmcnt(0)
	v_and_or_b32 v38, v32, s17, 0x64006400
	v_and_or_b32 v41, v32, s1, 0x64006400
	;; [unrolled: 1-line block ×4, first 2 shown]
	v_lshrrev_b32_e32 v12, 8, v32
	v_sub_f16_e32 v32, 0xdc00, v47
	v_and_or_b32 v58, v33, s17, 0x64006400
	v_and_or_b32 v59, v33, s1, 0x64006400
	;; [unrolled: 1-line block ×4, first 2 shown]
	v_lshrrev_b32_e32 v11, 8, v33
	v_and_or_b32 v33, v34, s17, 0x64006400
	v_and_or_b32 v61, v34, s1, 0x64006400
	;; [unrolled: 1-line block ×4, first 2 shown]
	v_lshrrev_b32_e32 v9, 8, v34
	v_sub_f16_e32 v34, 0xdc00, v48
	v_mul_u32_u24_sdwa v32, v32, v0 dst_sel:DWORD dst_unused:UNUSED_PAD src0_sel:WORD_0 src1_sel:DWORD
	v_pk_add_f16 v56, v8, v38
	v_and_or_b32 v36, v31, s17, 0x64006400
	v_and_or_b32 v37, v31, s1, 0x64006400
	;; [unrolled: 1-line block ×4, first 2 shown]
	v_lshrrev_b32_e32 v14, 8, v31
	v_mul_u32_u24_sdwa v31, v35, v0 dst_sel:DWORD dst_unused:UNUSED_PAD src0_sel:WORD_0 src1_sel:DWORD
	v_mul_u32_u24_sdwa v34, v34, v0 dst_sel:DWORD dst_unused:UNUSED_PAD src0_sel:WORD_0 src1_sel:DWORD
	v_pk_fma_f16 v57, 0x3400, v41, v32 op_sel_hi:[0,1,1]
	v_pk_add_f16 v58, v7, v58
	s_waitcnt lgkmcnt(1)
	v_pk_fma_f16 v35, v56, v39, 0
	v_pk_add_f16 v54, v10, v36
	v_pk_fma_f16 v59, 0x3400, v59, v34 op_sel_hi:[0,1,1]
	v_pk_add_f16 v60, v13, v33
	v_pk_fma_f16 v55, 0x3400, v37, v31 op_sel_hi:[0,1,1]
	v_pk_fma_f16 v36, v57, v40, v35
	v_pk_fma_f16 v35, v58, v39, 0
	v_pk_fma_f16 v61, 0x3400, v61, v16 op_sel_hi:[0,1,1]
	v_pk_fma_f16 v33, v54, v39, 0
	s_waitcnt lgkmcnt(0)
	v_pk_fma_f16 v37, v56, v62, 0
	v_pk_fma_f16 v41, v60, v62, 0
	;; [unrolled: 1-line block ×12, first 2 shown]
	ds_read2_b32 v[62:63], v15 offset0:128 offset1:129
	s_waitcnt lgkmcnt(0)
	v_pk_fma_f16 v64, v54, v62, 0
	v_pk_fma_f16 v65, v56, v62, 0
	;; [unrolled: 1-line block ×8, first 2 shown]
	ds_read2_b32 v[62:63], v15 offset0:192 offset1:193
	s_waitcnt lgkmcnt(0)
	v_pk_fma_f16 v54, v54, v62, 0
	v_pk_fma_f16 v54, v55, v63, v54
	;; [unrolled: 1-line block ×4, first 2 shown]
	v_sub_f16_e32 v58, 0xd400, v46
	v_sub_f16_e32 v46, 0xcc00, v46
	v_pk_fma_f16 v55, v57, v63, v55
	v_pk_fma_f16 v57, v60, v62, 0
	v_mul_u32_u24_sdwa v58, v58, v0 dst_sel:DWORD dst_unused:UNUSED_PAD src0_sel:WORD_0 src1_sel:DWORD
	v_mul_u32_u24_sdwa v46, v46, v0 dst_sel:DWORD dst_unused:UNUSED_PAD src0_sel:WORD_0 src1_sel:DWORD
	v_pk_fma_f16 v56, v59, v63, v56
	v_sub_f16_e32 v59, 0xd400, v47
	v_pk_fma_f16 v57, v61, v63, v57
	v_pk_fma_f16 v62, 0x2c00, v42, v58 op_sel_hi:[0,1,1]
	v_pk_fma_f16 v63, 0x2400, v43, v46 op_sel_hi:[0,1,1]
	ds_read2_b32 v[42:43], v15 offset0:2 offset1:3
	v_sub_f16_e32 v60, 0xd400, v48
	v_sub_f16_e32 v61, 0xd400, v49
	;; [unrolled: 1-line block ×5, first 2 shown]
	v_mul_u32_u24_sdwa v59, v59, v0 dst_sel:DWORD dst_unused:UNUSED_PAD src0_sel:WORD_0 src1_sel:DWORD
	v_mul_u32_u24_sdwa v60, v60, v0 dst_sel:DWORD dst_unused:UNUSED_PAD src0_sel:WORD_0 src1_sel:DWORD
	;; [unrolled: 1-line block ×6, first 2 shown]
	v_pk_fma_f16 v44, 0x2c00, v44, v59 op_sel_hi:[0,1,1]
	v_pk_fma_f16 v50, 0x2c00, v50, v60 op_sel_hi:[0,1,1]
	;; [unrolled: 1-line block ×6, first 2 shown]
	s_waitcnt lgkmcnt(0)
	v_pk_fma_f16 v33, v62, v42, v33
	v_pk_fma_f16 v36, v44, v42, v36
	;; [unrolled: 1-line block ×8, first 2 shown]
	ds_read2_b32 v[42:43], v15 offset0:66 offset1:67
	s_waitcnt lgkmcnt(0)
	v_pk_fma_f16 v33, v62, v42, v35
	v_pk_fma_f16 v35, v44, v42, v37
	;; [unrolled: 1-line block ×7, first 2 shown]
	ds_read2_b32 v[35:36], v15 offset0:130 offset1:131
	v_pk_fma_f16 v74, v53, v43, v37
	s_waitcnt lgkmcnt(0)
	v_pk_fma_f16 v33, v62, v35, v64
	v_pk_fma_f16 v37, v44, v35, v65
	;; [unrolled: 1-line block ×8, first 2 shown]
	ds_read2_b32 v[35:36], v15 offset0:194 offset1:195
	s_waitcnt lgkmcnt(0)
	v_pk_fma_f16 v33, v62, v35, v54
	v_pk_fma_f16 v37, v44, v35, v55
	;; [unrolled: 1-line block ×5, first 2 shown]
	v_and_or_b32 v33, v14, s17, 0x64006400
	v_pk_fma_f16 v50, v51, v36, v38
	v_pk_fma_f16 v51, v53, v36, v35
	;; [unrolled: 1-line block ×3, first 2 shown]
	v_pk_add_f16 v53, v10, v33
	v_and_or_b32 v10, v14, s1, 0x64006400
	v_pk_fma_f16 v52, 0x3400, v10, v31 op_sel_hi:[0,1,1]
	v_and_or_b32 v10, v14, s8, 0x64006400
	v_pk_fma_f16 v33, 0x2c00, v10, v58 op_sel_hi:[0,1,1]
	;; [unrolled: 2-line block ×3, first 2 shown]
	v_and_or_b32 v10, v12, s17, 0x64006400
	v_pk_add_f16 v46, v8, v10
	v_and_or_b32 v8, v12, s1, 0x64006400
	v_pk_fma_f16 v14, 0x3400, v8, v32 op_sel_hi:[0,1,1]
	v_and_or_b32 v8, v12, s8, 0x64006400
	v_pk_fma_f16 v35, 0x2c00, v8, v59 op_sel_hi:[0,1,1]
	;; [unrolled: 2-line block ×3, first 2 shown]
	v_and_or_b32 v8, v11, s17, 0x64006400
	v_pk_add_f16 v47, v7, v8
	v_and_or_b32 v7, v11, s1, 0x64006400
	v_and_or_b32 v8, v9, s9, 0x64006400
	v_pk_fma_f16 v54, 0x3400, v7, v34 op_sel_hi:[0,1,1]
	v_and_or_b32 v7, v11, s8, 0x64006400
	v_pk_fma_f16 v36, 0x2400, v8, v49 op_sel_hi:[0,1,1]
	v_pk_fma_f16 v37, 0x2c00, v7, v60 op_sel_hi:[0,1,1]
	v_and_or_b32 v7, v11, s9, 0x64006400
	v_pk_fma_f16 v34, 0x2400, v7, v48 op_sel_hi:[0,1,1]
	v_and_or_b32 v7, v9, s17, 0x64006400
	v_pk_add_f16 v13, v13, v7
	v_and_or_b32 v7, v9, s1, 0x64006400
	v_pk_fma_f16 v39, 0x3400, v7, v16 op_sel_hi:[0,1,1]
	v_and_or_b32 v7, v9, s8, 0x64006400
	v_pk_fma_f16 v38, 0x2c00, v7, v61 op_sel_hi:[0,1,1]
	ds_read2_b32 v[7:8], v15 offset0:4 offset1:5
	s_waitcnt lgkmcnt(0)
	v_pk_fma_f16 v9, v53, v7, v68
	v_pk_fma_f16 v10, v46, v7, v69
	;; [unrolled: 1-line block ×8, first 2 shown]
	ds_read2_b32 v[9:10], v15 offset0:68 offset1:69
	ds_read2_b32 v[11:12], v15 offset0:132 offset1:133
	ds_read2_b32 v[7:8], v15 offset0:196 offset1:197
	s_waitcnt lgkmcnt(2)
	v_pk_fma_f16 v16, v53, v9, v71
	s_waitcnt lgkmcnt(1)
	v_pk_fma_f16 v48, v53, v11, v64
	;; [unrolled: 2-line block ×3, first 2 shown]
	v_pk_fma_f16 v44, v46, v9, v72
	v_pk_fma_f16 v49, v46, v11, v65
	;; [unrolled: 1-line block ×13, first 2 shown]
	ds_read2_b32 v[9:10], v15 offset0:6 offset1:7
	v_pk_fma_f16 v48, v52, v12, v48
	v_pk_fma_f16 v49, v14, v12, v49
	;; [unrolled: 1-line block ×4, first 2 shown]
	ds_read2_b32 v[11:12], v15 offset0:70 offset1:71
	v_pk_fma_f16 v52, v52, v8, v53
	v_pk_fma_f16 v53, v14, v8, v55
	ds_read2_b32 v[13:14], v15 offset0:134 offset1:135
	ds_read2_b32 v[15:16], v15 offset0:198 offset1:199
	v_pk_fma_f16 v54, v54, v8, v57
	v_pk_fma_f16 v8, v39, v8, v47
	s_waitcnt lgkmcnt(3)
	v_pk_fma_f16 v39, v33, v9, v40
	v_pk_fma_f16 v40, v35, v9, v41
	v_pk_fma_f16 v41, v37, v9, v42
	v_pk_fma_f16 v9, v38, v9, v43
	s_waitcnt lgkmcnt(2)
	v_pk_fma_f16 v7, v33, v11, v7
	v_pk_fma_f16 v42, v35, v11, v44
	;; [unrolled: 5-line block ×4, first 2 shown]
	v_pk_fma_f16 v37, v37, v15, v54
	v_pk_fma_f16 v8, v38, v15, v8
	v_pk_fma_f16 v15, v31, v10, v39
	v_pk_fma_f16 v38, v32, v10, v40
	v_pk_fma_f16 v39, v34, v10, v41
	v_pk_fma_f16 v9, v36, v10, v9
	v_pk_fma_f16 v7, v31, v12, v7
	v_pk_fma_f16 v10, v32, v12, v42
	v_pk_fma_f16 v40, v34, v12, v43
	v_pk_fma_f16 v11, v36, v12, v11
	v_pk_fma_f16 v12, v31, v14, v44
	v_pk_fma_f16 v41, v32, v14, v45
	v_pk_fma_f16 v42, v34, v14, v46
	v_pk_fma_f16 v13, v36, v14, v13
	v_pk_fma_f16 v14, v31, v16, v33
	v_pk_fma_f16 v31, v32, v16, v35
	v_pk_fma_f16 v32, v34, v16, v37
	v_pk_fma_f16 v8, v36, v16, v8
	v_pack_b32_f16 v16, v15, v38
	v_perm_b32 v15, v38, v15, 0x7060302
	v_pack_b32_f16 v33, v7, v10
	v_perm_b32 v7, v10, v7, 0x7060302
	;; [unrolled: 2-line block ×8, first 2 shown]
	v_pk_add_f16 v15, v16, v15
	v_pk_add_f16 v7, v33, v7
	;; [unrolled: 1-line block ×8, first 2 shown]
	v_pk_fma_f16 v25, v15, v3, v25
	v_pk_fma_f16 v22, v7, v3, v22
	;; [unrolled: 1-line block ×8, first 2 shown]
	s_cbranch_scc1 .LBB27_16
.LBB27_14:                              ; =>This Inner Loop Header: Depth=1
	s_cmp_lg_u32 s18, s20
	s_cbranch_scc1 .LBB27_13
; %bb.15:                               ;   in Loop: Header=BB27_14 Depth=1
	s_add_i32 s6, s6, 1
	s_add_i32 s20, s20, s5
	s_mul_i32 s21, s6, s0
	s_ashr_i32 s22, s21, 31
	v_add_nc_u32_e32 v7, s21, v1
	s_lshr_b32 s22, s22, 28
	s_add_i32 s22, s21, s22
	v_ashrrev_i32_e32 v8, 31, v7
	s_ashr_i32 s22, s22, 4
	s_waitcnt vmcnt(0)
	v_add_nc_u32_e32 v3, s22, v24
	v_lshlrev_b64 v[7:8], 1, v[7:8]
	v_ashrrev_i32_e32 v4, 31, v3
	v_lshlrev_b64 v[3:4], 2, v[3:4]
	v_add_co_u32 v3, vcc_lo, s10, v3
	v_add_co_ci_u32_e64 v4, null, s11, v4, vcc_lo
	global_load_dword v9, v[3:4], off
	v_add_co_u32 v3, vcc_lo, s12, v7
	v_add_co_ci_u32_e64 v4, null, s13, v8, vcc_lo
	global_load_dwordx2 v[3:4], v[3:4], off
	s_waitcnt vmcnt(1)
	v_lshrrev_b32_e32 v7, v26, v9
	v_bfe_u32 v27, v9, v26, 2
	v_bfe_u32 v28, v7, 2, 2
	;; [unrolled: 1-line block ×4, first 2 shown]
	s_branch .LBB27_13
.LBB27_16:
	v_mad_u64_u32 v[0:1], null, s7, s0, v[1:2]
	s_mov_b32 s1, 0
	v_ashrrev_i32_e32 v1, 31, v0
	v_lshlrev_b64 v[1:2], 1, v[0:1]
	v_add_co_u32 v1, vcc_lo, s14, v1
	v_add_co_ci_u32_e64 v2, null, s15, v2, vcc_lo
	global_load_dword v4, v[1:2], off
.LBB27_17:                              ; =>This Inner Loop Header: Depth=1
	s_waitcnt vmcnt(0)
	v_pk_add_f16 v3, v25, v4
	global_atomic_cmpswap v3, v[1:2], v[3:4], off glc
	s_waitcnt vmcnt(0)
	v_cmp_eq_u32_e32 vcc_lo, v4, v3
	v_mov_b32_e32 v4, v3
	s_or_b32 s1, vcc_lo, s1
	s_andn2_b32 exec_lo, exec_lo, s1
	s_cbranch_execnz .LBB27_17
; %bb.18:
	s_or_b32 exec_lo, exec_lo, s1
	global_load_dword v4, v[1:2], off offset:4
	s_mov_b32 s1, 0
.LBB27_19:                              ; =>This Inner Loop Header: Depth=1
	s_waitcnt vmcnt(0)
	v_pk_add_f16 v3, v23, v4
	global_atomic_cmpswap v3, v[1:2], v[3:4], off offset:4 glc
	s_waitcnt vmcnt(0)
	v_cmp_eq_u32_e32 vcc_lo, v4, v3
	v_mov_b32_e32 v4, v3
	s_or_b32 s1, vcc_lo, s1
	s_andn2_b32 exec_lo, exec_lo, s1
	s_cbranch_execnz .LBB27_19
; %bb.20:
	s_or_b32 exec_lo, exec_lo, s1
	v_add_nc_u32_e32 v0, s0, v0
	s_mov_b32 s1, 0
	v_ashrrev_i32_e32 v1, 31, v0
	v_lshlrev_b64 v[1:2], 1, v[0:1]
	v_add_co_u32 v1, vcc_lo, s14, v1
	v_add_co_ci_u32_e64 v2, null, s15, v2, vcc_lo
	global_load_dword v4, v[1:2], off
.LBB27_21:                              ; =>This Inner Loop Header: Depth=1
	s_waitcnt vmcnt(0)
	v_pk_add_f16 v3, v22, v4
	global_atomic_cmpswap v3, v[1:2], v[3:4], off glc
	s_waitcnt vmcnt(0)
	v_cmp_eq_u32_e32 vcc_lo, v4, v3
	v_mov_b32_e32 v4, v3
	s_or_b32 s1, vcc_lo, s1
	s_andn2_b32 exec_lo, exec_lo, s1
	s_cbranch_execnz .LBB27_21
; %bb.22:
	s_or_b32 exec_lo, exec_lo, s1
	global_load_dword v4, v[1:2], off offset:4
	s_mov_b32 s1, 0
.LBB27_23:                              ; =>This Inner Loop Header: Depth=1
	s_waitcnt vmcnt(0)
	v_pk_add_f16 v3, v21, v4
	global_atomic_cmpswap v3, v[1:2], v[3:4], off offset:4 glc
	s_waitcnt vmcnt(0)
	v_cmp_eq_u32_e32 vcc_lo, v4, v3
	v_mov_b32_e32 v4, v3
	s_or_b32 s1, vcc_lo, s1
	s_andn2_b32 exec_lo, exec_lo, s1
	s_cbranch_execnz .LBB27_23
; %bb.24:
	s_or_b32 exec_lo, exec_lo, s1
	v_add_nc_u32_e32 v0, s0, v0
	;; [unrolled: 33-line block ×3, first 2 shown]
	s_mov_b32 s0, 0
	v_ashrrev_i32_e32 v1, 31, v0
	v_lshlrev_b64 v[0:1], 1, v[0:1]
	v_add_co_u32 v0, vcc_lo, s14, v0
	v_add_co_ci_u32_e64 v1, null, s15, v1, vcc_lo
	global_load_dword v3, v[0:1], off
.LBB27_29:                              ; =>This Inner Loop Header: Depth=1
	s_waitcnt vmcnt(0)
	v_pk_add_f16 v2, v18, v3
	global_atomic_cmpswap v2, v[0:1], v[2:3], off glc
	s_waitcnt vmcnt(0)
	v_cmp_eq_u32_e32 vcc_lo, v3, v2
	v_mov_b32_e32 v3, v2
	s_or_b32 s0, vcc_lo, s0
	s_andn2_b32 exec_lo, exec_lo, s0
	s_cbranch_execnz .LBB27_29
; %bb.30:
	s_or_b32 exec_lo, exec_lo, s0
	global_load_dword v3, v[0:1], off offset:4
	s_mov_b32 s0, 0
.LBB27_31:                              ; =>This Inner Loop Header: Depth=1
	s_waitcnt vmcnt(0)
	v_pk_add_f16 v2, v17, v3
	global_atomic_cmpswap v2, v[0:1], v[2:3], off offset:4 glc
	s_waitcnt vmcnt(0)
	v_cmp_eq_u32_e32 vcc_lo, v3, v2
	v_mov_b32_e32 v3, v2
	s_or_b32 s0, vcc_lo, s0
	s_andn2_b32 exec_lo, exec_lo, s0
	s_cbranch_execnz .LBB27_31
.LBB27_32:
	s_endpgm
	.section	.rodata,"a",@progbits
	.p2align	6, 0x0
	.amdhsa_kernel _ZN4vllm4gptq33gemm_half_q_half_gptq_2bit_kernelILb1ELi4EEEvPK6__halfPKjS6_S4_PS2_iiiibPKi
		.amdhsa_group_segment_fixed_size 1024
		.amdhsa_private_segment_fixed_size 0
		.amdhsa_kernarg_size 72
		.amdhsa_user_sgpr_count 6
		.amdhsa_user_sgpr_private_segment_buffer 1
		.amdhsa_user_sgpr_dispatch_ptr 0
		.amdhsa_user_sgpr_queue_ptr 0
		.amdhsa_user_sgpr_kernarg_segment_ptr 1
		.amdhsa_user_sgpr_dispatch_id 0
		.amdhsa_user_sgpr_flat_scratch_init 0
		.amdhsa_user_sgpr_private_segment_size 0
		.amdhsa_wavefront_size32 1
		.amdhsa_uses_dynamic_stack 0
		.amdhsa_system_sgpr_private_segment_wavefront_offset 0
		.amdhsa_system_sgpr_workgroup_id_x 1
		.amdhsa_system_sgpr_workgroup_id_y 1
		.amdhsa_system_sgpr_workgroup_id_z 1
		.amdhsa_system_sgpr_workgroup_info 0
		.amdhsa_system_vgpr_workitem_id 0
		.amdhsa_next_free_vgpr 75
		.amdhsa_next_free_sgpr 24
		.amdhsa_reserve_vcc 1
		.amdhsa_reserve_flat_scratch 0
		.amdhsa_float_round_mode_32 0
		.amdhsa_float_round_mode_16_64 0
		.amdhsa_float_denorm_mode_32 3
		.amdhsa_float_denorm_mode_16_64 3
		.amdhsa_dx10_clamp 1
		.amdhsa_ieee_mode 1
		.amdhsa_fp16_overflow 0
		.amdhsa_workgroup_processor_mode 1
		.amdhsa_memory_ordered 1
		.amdhsa_forward_progress 1
		.amdhsa_shared_vgpr_count 0
		.amdhsa_exception_fp_ieee_invalid_op 0
		.amdhsa_exception_fp_denorm_src 0
		.amdhsa_exception_fp_ieee_div_zero 0
		.amdhsa_exception_fp_ieee_overflow 0
		.amdhsa_exception_fp_ieee_underflow 0
		.amdhsa_exception_fp_ieee_inexact 0
		.amdhsa_exception_int_div_zero 0
	.end_amdhsa_kernel
	.section	.text._ZN4vllm4gptq33gemm_half_q_half_gptq_2bit_kernelILb1ELi4EEEvPK6__halfPKjS6_S4_PS2_iiiibPKi,"axG",@progbits,_ZN4vllm4gptq33gemm_half_q_half_gptq_2bit_kernelILb1ELi4EEEvPK6__halfPKjS6_S4_PS2_iiiibPKi,comdat
.Lfunc_end27:
	.size	_ZN4vllm4gptq33gemm_half_q_half_gptq_2bit_kernelILb1ELi4EEEvPK6__halfPKjS6_S4_PS2_iiiibPKi, .Lfunc_end27-_ZN4vllm4gptq33gemm_half_q_half_gptq_2bit_kernelILb1ELi4EEEvPK6__halfPKjS6_S4_PS2_iiiibPKi
                                        ; -- End function
	.set _ZN4vllm4gptq33gemm_half_q_half_gptq_2bit_kernelILb1ELi4EEEvPK6__halfPKjS6_S4_PS2_iiiibPKi.num_vgpr, 75
	.set _ZN4vllm4gptq33gemm_half_q_half_gptq_2bit_kernelILb1ELi4EEEvPK6__halfPKjS6_S4_PS2_iiiibPKi.num_agpr, 0
	.set _ZN4vllm4gptq33gemm_half_q_half_gptq_2bit_kernelILb1ELi4EEEvPK6__halfPKjS6_S4_PS2_iiiibPKi.numbered_sgpr, 24
	.set _ZN4vllm4gptq33gemm_half_q_half_gptq_2bit_kernelILb1ELi4EEEvPK6__halfPKjS6_S4_PS2_iiiibPKi.num_named_barrier, 0
	.set _ZN4vllm4gptq33gemm_half_q_half_gptq_2bit_kernelILb1ELi4EEEvPK6__halfPKjS6_S4_PS2_iiiibPKi.private_seg_size, 0
	.set _ZN4vllm4gptq33gemm_half_q_half_gptq_2bit_kernelILb1ELi4EEEvPK6__halfPKjS6_S4_PS2_iiiibPKi.uses_vcc, 1
	.set _ZN4vllm4gptq33gemm_half_q_half_gptq_2bit_kernelILb1ELi4EEEvPK6__halfPKjS6_S4_PS2_iiiibPKi.uses_flat_scratch, 0
	.set _ZN4vllm4gptq33gemm_half_q_half_gptq_2bit_kernelILb1ELi4EEEvPK6__halfPKjS6_S4_PS2_iiiibPKi.has_dyn_sized_stack, 0
	.set _ZN4vllm4gptq33gemm_half_q_half_gptq_2bit_kernelILb1ELi4EEEvPK6__halfPKjS6_S4_PS2_iiiibPKi.has_recursion, 0
	.set _ZN4vllm4gptq33gemm_half_q_half_gptq_2bit_kernelILb1ELi4EEEvPK6__halfPKjS6_S4_PS2_iiiibPKi.has_indirect_call, 0
	.section	.AMDGPU.csdata,"",@progbits
; Kernel info:
; codeLenInByte = 4560
; TotalNumSgprs: 26
; NumVgprs: 75
; ScratchSize: 0
; MemoryBound: 0
; FloatMode: 240
; IeeeMode: 1
; LDSByteSize: 1024 bytes/workgroup (compile time only)
; SGPRBlocks: 0
; VGPRBlocks: 9
; NumSGPRsForWavesPerEU: 26
; NumVGPRsForWavesPerEU: 75
; Occupancy: 12
; WaveLimiterHint : 0
; COMPUTE_PGM_RSRC2:SCRATCH_EN: 0
; COMPUTE_PGM_RSRC2:USER_SGPR: 6
; COMPUTE_PGM_RSRC2:TRAP_HANDLER: 0
; COMPUTE_PGM_RSRC2:TGID_X_EN: 1
; COMPUTE_PGM_RSRC2:TGID_Y_EN: 1
; COMPUTE_PGM_RSRC2:TGID_Z_EN: 1
; COMPUTE_PGM_RSRC2:TIDIG_COMP_CNT: 0
	.section	.text._ZN4vllm4gptq33gemm_half_q_half_gptq_3bit_kernelILb1ELi4EEEvPK6__halfPKjS6_S4_PS2_iiiibPKi,"axG",@progbits,_ZN4vllm4gptq33gemm_half_q_half_gptq_3bit_kernelILb1ELi4EEEvPK6__halfPKjS6_S4_PS2_iiiibPKi,comdat
	.protected	_ZN4vllm4gptq33gemm_half_q_half_gptq_3bit_kernelILb1ELi4EEEvPK6__halfPKjS6_S4_PS2_iiiibPKi ; -- Begin function _ZN4vllm4gptq33gemm_half_q_half_gptq_3bit_kernelILb1ELi4EEEvPK6__halfPKjS6_S4_PS2_iiiibPKi
	.globl	_ZN4vllm4gptq33gemm_half_q_half_gptq_3bit_kernelILb1ELi4EEEvPK6__halfPKjS6_S4_PS2_iiiibPKi
	.p2align	8
	.type	_ZN4vllm4gptq33gemm_half_q_half_gptq_3bit_kernelILb1ELi4EEEvPK6__halfPKjS6_S4_PS2_iiiibPKi,@function
_ZN4vllm4gptq33gemm_half_q_half_gptq_3bit_kernelILb1ELi4EEEvPK6__halfPKjS6_S4_PS2_iiiibPKi: ; @_ZN4vllm4gptq33gemm_half_q_half_gptq_3bit_kernelILb1ELi4EEEvPK6__halfPKjS6_S4_PS2_iiiibPKi
; %bb.0:
	s_load_dwordx4 s[16:19], s[4:5], 0x2c
	s_lshl_b32 s20, s8, 7
	s_load_dwordx8 s[8:15], s[4:5], 0x8
	s_add_i32 s0, s20, 0x80
	s_lshl_b32 s7, s7, 2
	v_cvt_f64_u32_e32 v[1:2], s0
	s_mov_b32 s22, exec_lo
	s_waitcnt lgkmcnt(0)
	v_cvt_f64_i32_e32 v[3:4], s17
	v_min_f64 v[1:2], v[1:2], v[3:4]
	v_cvt_i32_f64_e32 v2, v[1:2]
	v_add_nc_u32_e32 v1, s20, v0
	v_readfirstlane_b32 s21, v2
	v_cmpx_lt_u32_e64 v1, v2
	s_cbranch_execz .LBB28_10
; %bb.1:
	s_clause 0x1
	s_load_dwordx2 s[2:3], s[4:5], 0x40
	s_load_dwordx2 s[0:1], s[4:5], 0x0
	v_mov_b32_e32 v2, 0
	v_lshlrev_b64 v[3:4], 2, v[1:2]
	v_mov_b32_e32 v6, v2
	v_mov_b32_e32 v5, v1
	s_waitcnt lgkmcnt(0)
	v_add_co_u32 v3, vcc_lo, s2, v3
	v_add_co_ci_u32_e64 v4, null, s3, v4, vcc_lo
	s_cmp_lg_u64 s[2:3], 0
	s_cselect_b32 s4, -1, 0
	s_cmp_eq_u64 s[2:3], 0
	s_cbranch_scc1 .LBB28_3
; %bb.2:
	global_load_dword v5, v[3:4], off
	s_waitcnt vmcnt(0)
	v_ashrrev_i32_e32 v6, 31, v5
.LBB28_3:
	s_mul_i32 s2, s7, s17
	v_lshlrev_b64 v[5:6], 1, v[5:6]
	s_ashr_i32 s3, s2, 31
	v_cndmask_b32_e64 v8, 0, 1, s4
	s_lshl_b64 s[24:25], s[2:3], 1
	v_lshlrev_b32_e32 v7, 1, v0
	s_add_u32 s3, s0, s24
	s_addc_u32 s5, s1, s25
	v_add_co_u32 v5, vcc_lo, s3, v5
	v_add_co_ci_u32_e64 v6, null, s5, v6, vcc_lo
	s_andn2_b32 vcc_lo, exec_lo, s4
	global_load_ushort v9, v[5:6], off
	v_mov_b32_e32 v6, v2
	v_mov_b32_e32 v5, v1
	s_waitcnt vmcnt(0)
	ds_write_b16 v7, v9
	s_cbranch_vccnz .LBB28_5
; %bb.4:
	global_load_dword v5, v[3:4], off
	s_waitcnt vmcnt(0)
	v_ashrrev_i32_e32 v6, 31, v5
.LBB28_5:
	s_add_i32 s2, s2, s17
	v_lshlrev_b64 v[5:6], 1, v[5:6]
	s_ashr_i32 s3, s2, 31
	s_lshl_b64 s[4:5], s[2:3], 1
	s_add_u32 s3, s0, s4
	s_addc_u32 s4, s1, s5
	v_add_co_u32 v5, vcc_lo, s3, v5
	v_add_co_ci_u32_e64 v6, null, s4, v6, vcc_lo
	v_cmp_ne_u32_e32 vcc_lo, 1, v8
	global_load_ushort v9, v[5:6], off
	v_mov_b32_e32 v6, v2
	v_mov_b32_e32 v5, v1
	s_waitcnt vmcnt(0)
	ds_write_b16 v7, v9 offset:256
	s_cbranch_vccnz .LBB28_7
; %bb.6:
	global_load_dword v5, v[3:4], off
	s_waitcnt vmcnt(0)
	v_ashrrev_i32_e32 v6, 31, v5
.LBB28_7:
	s_add_i32 s2, s2, s17
	v_lshlrev_b64 v[5:6], 1, v[5:6]
	s_ashr_i32 s3, s2, 31
	s_lshl_b64 s[4:5], s[2:3], 1
	s_add_u32 s3, s0, s4
	s_addc_u32 s4, s1, s5
	v_add_co_u32 v5, vcc_lo, s3, v5
	v_add_co_ci_u32_e64 v6, null, s4, v6, vcc_lo
	v_cmp_ne_u32_e32 vcc_lo, 1, v8
	global_load_ushort v5, v[5:6], off
	s_waitcnt vmcnt(0)
	ds_write_b16 v7, v5 offset:512
	s_cbranch_vccnz .LBB28_9
; %bb.8:
	global_load_dword v1, v[3:4], off
	s_waitcnt vmcnt(0)
	v_ashrrev_i32_e32 v2, 31, v1
.LBB28_9:
	s_add_i32 s2, s2, s17
	v_lshlrev_b64 v[1:2], 1, v[1:2]
	s_ashr_i32 s3, s2, 31
	s_lshl_b64 s[2:3], s[2:3], 1
	s_add_u32 s0, s0, s2
	s_addc_u32 s1, s1, s3
	v_add_co_u32 v1, vcc_lo, s0, v1
	v_add_co_ci_u32_e64 v2, null, s1, v2, vcc_lo
	global_load_ushort v1, v[1:2], off
	s_waitcnt vmcnt(0)
	ds_write_b16 v7, v1 offset:768
.LBB28_10:
	s_or_b32 exec_lo, exec_lo, s22
	v_lshlrev_b32_e32 v0, 2, v0
	s_mov_b32 s0, exec_lo
	v_lshl_add_u32 v12, s6, 9, v0
	v_cmpx_gt_i32_e64 s16, v12
	s_cbranch_execz .LBB28_64
; %bb.11:
	s_abs_i32 s0, s18
	s_abs_i32 s3, s17
	v_cvt_f32_u32_e32 v1, s0
	s_sub_i32 s2, 0, s0
	v_and_b32_e32 v2, 28, v0
	s_waitcnt lgkmcnt(0)
	s_barrier
	v_rcp_iflag_f32_e32 v1, v1
	buffer_gl0_inv
	v_cmp_lt_u32_e32 vcc_lo, 4, v2
                                        ; implicit-def: $vgpr3
                                        ; implicit-def: $vgpr0
	v_mul_f32_e32 v1, 0x4f7ffffe, v1
	v_cvt_u32_f32_e32 v1, v1
	v_readfirstlane_b32 s1, v1
	s_mul_i32 s2, s2, s1
	s_mul_hi_u32 s2, s1, s2
	s_add_i32 s1, s1, s2
	s_xor_b32 s2, s17, s18
	s_mul_hi_u32 s1, s3, s1
	s_ashr_i32 s2, s2, 31
	s_mul_i32 s4, s1, s0
	s_sub_i32 s3, s3, s4
	s_add_i32 s4, s1, 1
	s_sub_i32 s5, s3, s0
	s_cmp_ge_u32 s3, s0
	s_cselect_b32 s1, s4, s1
	s_cselect_b32 s3, s5, s3
	s_add_i32 s4, s1, 1
	s_cmp_ge_u32 s3, s0
	s_cselect_b32 s0, s4, s1
	s_xor_b32 s0, s0, s2
	s_sub_i32 s6, s0, s2
	v_cvt_f32_u32_e32 v1, s6
	s_sub_i32 s1, 0, s6
	v_rcp_iflag_f32_e32 v1, v1
	v_mul_f32_e32 v1, 0x4f7ffffe, v1
	v_cvt_u32_f32_e32 v1, v1
	v_readfirstlane_b32 s0, v1
	s_mul_i32 s1, s1, s0
	s_mul_hi_u32 s1, s0, s1
	s_add_i32 s0, s0, s1
	s_mul_hi_u32 s0, s20, s0
	s_mul_i32 s1, s0, s6
	s_add_i32 s2, s0, 1
	s_sub_i32 s1, s20, s1
	s_sub_i32 s3, s1, s6
	s_cmp_ge_u32 s1, s6
	s_cselect_b32 s0, s2, s0
	s_cselect_b32 s1, s3, s1
	s_add_i32 s2, s0, 1
	s_cmp_ge_u32 s1, s6
	s_cselect_b32 s18, s2, s0
	s_and_saveexec_b32 s0, vcc_lo
	s_xor_b32 s1, exec_lo, s0
	s_cbranch_execz .LBB28_25
; %bb.12:
	s_mov_b32 s2, exec_lo
                                        ; implicit-def: $vgpr3
                                        ; implicit-def: $vgpr0
	v_cmpx_ne_u32_e32 8, v2
	s_xor_b32 s2, exec_lo, s2
	s_cbranch_execz .LBB28_22
; %bb.13:
	s_mov_b32 s3, exec_lo
                                        ; implicit-def: $vgpr3
                                        ; implicit-def: $vgpr0
	v_cmpx_lt_u32_e32 16, v2
	s_xor_b32 s3, exec_lo, s3
	s_cbranch_execz .LBB28_19
; %bb.14:
	v_lshl_add_u32 v0, v12, 1, v12
	s_mul_i32 s4, s18, s16
                                        ; implicit-def: $vgpr3
	s_ashr_i32 s0, s4, 31
	s_lshr_b32 s0, s0, 27
	v_ashrrev_i32_e32 v1, 31, v0
	s_add_i32 s0, s4, s0
	s_ashr_i32 s0, s0, 5
	v_lshrrev_b32_e32 v1, 27, v1
	v_add_nc_u32_e32 v0, v0, v1
	v_ashrrev_i32_e32 v0, 5, v0
	v_mad_u64_u32 v[0:1], null, s0, 3, v[0:1]
	v_ashrrev_i32_e32 v1, 31, v0
	v_lshlrev_b64 v[0:1], 2, v[0:1]
	v_add_co_u32 v0, s0, s10, v0
	v_add_co_ci_u32_e64 v1, null, s11, v1, s0
	v_cmp_ne_u32_e64 s0, 20, v2
	global_load_dword v4, v[0:1], off
	s_and_saveexec_b32 s5, s0
	s_xor_b32 s0, exec_lo, s5
	s_cbranch_execz .LBB28_16
; %bb.15:
	v_mad_u32_u24 v0, v2, 3, 0xffffffc0
	s_waitcnt vmcnt(0)
	v_lshrrev_b32_e32 v3, v0, v4
                                        ; implicit-def: $vgpr0_vgpr1
                                        ; implicit-def: $vgpr4
.LBB28_16:
	s_andn2_saveexec_b32 s0, s0
	s_cbranch_execz .LBB28_18
; %bb.17:
	global_load_dword v0, v[0:1], off offset:4
	s_waitcnt vmcnt(0)
	v_alignbit_b32 v0, v0, v4, 28
	v_and_b32_e32 v3, 0xfff, v0
.LBB28_18:
	s_or_b32 exec_lo, exec_lo, s0
	v_mov_b32_e32 v0, s4
.LBB28_19:
	s_andn2_saveexec_b32 s3, s3
	s_cbranch_execz .LBB28_21
; %bb.20:
	v_lshl_add_u32 v0, v12, 1, v12
	s_mul_i32 s4, s18, s16
	s_ashr_i32 s0, s4, 31
	s_lshr_b32 s0, s0, 27
	v_ashrrev_i32_e32 v1, 31, v0
	s_add_i32 s0, s4, s0
	s_ashr_i32 s0, s0, 5
	v_lshrrev_b32_e32 v1, 27, v1
	v_add_nc_u32_e32 v0, v0, v1
	v_ashrrev_i32_e32 v0, 5, v0
	v_mad_u64_u32 v[0:1], null, s0, 3, v[0:1]
	v_ashrrev_i32_e32 v1, 31, v0
	v_lshlrev_b64 v[0:1], 2, v[0:1]
	v_add_co_u32 v0, s0, s10, v0
	v_add_co_ci_u32_e64 v1, null, s11, v1, s0
	global_load_dword v0, v[0:1], off
	v_mad_u32_u24 v1, v2, 3, 0xffffffe0
	s_waitcnt vmcnt(0)
	v_lshrrev_b32_e32 v3, v1, v0
	v_mov_b32_e32 v0, s4
.LBB28_21:
	s_or_b32 exec_lo, exec_lo, s3
.LBB28_22:
	s_andn2_saveexec_b32 s2, s2
	s_cbranch_execz .LBB28_24
; %bb.23:
	v_lshl_add_u32 v0, v12, 1, v12
	s_mul_i32 s3, s18, s16
	s_ashr_i32 s0, s3, 31
	s_lshr_b32 s0, s0, 27
	v_ashrrev_i32_e32 v1, 31, v0
	s_add_i32 s0, s3, s0
	s_ashr_i32 s0, s0, 5
	v_lshrrev_b32_e32 v1, 27, v1
	v_add_nc_u32_e32 v0, v0, v1
	v_ashrrev_i32_e32 v0, 5, v0
	v_mad_u64_u32 v[0:1], null, s0, 3, v[0:1]
	v_ashrrev_i32_e32 v1, 31, v0
	v_lshlrev_b64 v[0:1], 2, v[0:1]
	v_add_co_u32 v0, s0, s10, v0
	v_add_co_ci_u32_e64 v1, null, s11, v1, s0
	global_load_dwordx2 v[0:1], v[0:1], off
	s_waitcnt vmcnt(0)
	v_perm_b32 v0, v0, v1, 0x2010007
	v_and_b32_e32 v3, 0xfff, v0
	v_mov_b32_e32 v0, s3
.LBB28_24:
	s_or_b32 exec_lo, exec_lo, s2
.LBB28_25:
	s_or_saveexec_b32 s1, s1
	v_lshl_add_u32 v1, v12, 1, v12
	v_mul_u32_u24_e32 v32, 3, v2
	s_waitcnt vmcnt(0)
	v_ashrrev_i32_e32 v4, 31, v1
	s_xor_b32 exec_lo, exec_lo, s1
	s_cbranch_execz .LBB28_27
; %bb.26:
	v_lshrrev_b32_e32 v0, 27, v4
	s_mul_i32 s2, s18, s16
	s_ashr_i32 s0, s2, 31
	s_lshr_b32 s0, s0, 27
	v_add_nc_u32_e32 v0, v1, v0
	s_add_i32 s0, s2, s0
	s_ashr_i32 s0, s0, 5
	v_ashrrev_i32_e32 v0, 5, v0
	v_mad_u64_u32 v[5:6], null, s0, 3, v[0:1]
	v_ashrrev_i32_e32 v6, 31, v5
	v_lshlrev_b64 v[5:6], 2, v[5:6]
	v_add_co_u32 v5, s0, s10, v5
	v_add_co_ci_u32_e64 v6, null, s11, v6, s0
	global_load_dword v0, v[5:6], off
	s_waitcnt vmcnt(0)
	v_lshrrev_b32_e32 v3, v32, v0
	v_mov_b32_e32 v0, s2
.LBB28_27:
	s_or_b32 exec_lo, exec_lo, s1
	v_mov_b32_e32 v36, 0
	v_mov_b32_e32 v35, 0
	;; [unrolled: 1-line block ×8, first 2 shown]
	s_cmp_ge_i32 s20, s21
	s_mov_b32 s22, 0
	s_cbranch_scc1 .LBB28_48
; %bb.28:
	v_add_nc_u32_e32 v5, v0, v12
	v_lshrrev_b32_e32 v0, 27, v4
	v_ashrrev_i32_e32 v13, 31, v12
	s_add_i32 s23, s6, s20
	v_bfe_u32 v41, v3, 9, 3
	v_ashrrev_i32_e32 v6, 31, v5
	v_add_nc_u32_e32 v0, v1, v0
	v_bfe_u32 v42, v3, 6, 3
	v_bfe_u32 v43, v3, 3, 3
	v_and_b32_e32 v44, 7, v3
	v_lshlrev_b64 v[5:6], 1, v[5:6]
	v_ashrrev_i32_e32 v14, 5, v0
	v_lshlrev_b64 v[0:1], 2, v[12:13]
	v_cmp_lt_u32_e64 s1, 16, v2
	v_cmp_ne_u32_e64 s2, 20, v2
	v_mad_u32_u24 v38, v2, 3, 0xffffffc0
	v_add_co_u32 v5, s0, s12, v5
	v_add_co_ci_u32_e64 v6, null, s13, v6, s0
	s_lshr_b32 s0, s20, 5
	v_mad_u32_u24 v39, v2, 3, 0xffffffe0
	s_mul_i32 s0, s0, s16
	global_load_dwordx2 v[17:18], v[5:6], off
	s_mul_i32 s4, s0, 3
	v_mov_b32_e32 v13, 0
	s_ashr_i32 s5, s4, 31
	s_bitcmp1_b32 s19, 0
	v_mov_b32_e32 v40, 0x10001
	s_cselect_b32 s0, -1, 0
	s_lshl_b64 s[4:5], s[4:5], 2
	s_xor_b32 s0, s0, -1
	s_ashr_i32 s17, s16, 31
	s_add_u32 s3, s8, s4
	s_addc_u32 s4, s9, s5
	v_add_co_u32 v15, s3, s3, v0
	v_cndmask_b32_e64 v37, 0, 1, s0
	v_cmp_ne_u32_e64 s0, 8, v2
	v_add_co_ci_u32_e64 v16, null, s4, v1, s3
	v_mov_b32_e32 v29, 0
	v_mov_b32_e32 v30, 0
	;; [unrolled: 1-line block ×7, first 2 shown]
	s_mul_hi_i32 s8, s16, 12
	s_mul_i32 s9, s16, 12
	s_lshl_b64 s[4:5], s[16:17], 2
	s_mov_b32 s17, 0x10001
	s_mov_b32 s19, 0x70007
	;; [unrolled: 1-line block ×4, first 2 shown]
	s_branch .LBB28_31
.LBB28_29:                              ;   in Loop: Header=BB28_31 Depth=1
	s_or_b32 exec_lo, exec_lo, s3
	v_add_nc_u32_e32 v0, s26, v12
	v_and_b32_e32 v44, 7, v2
	v_bfe_u32 v43, v2, 3, 3
	v_bfe_u32 v42, v2, 6, 3
	;; [unrolled: 1-line block ×3, first 2 shown]
	v_ashrrev_i32_e32 v1, 31, v0
	s_add_i32 s23, s23, s6
	v_lshlrev_b64 v[0:1], 1, v[0:1]
	v_add_co_u32 v0, s3, s12, v0
	v_add_co_ci_u32_e64 v1, null, s13, v1, s3
	global_load_dwordx2 v[17:18], v[0:1], off
.LBB28_30:                              ;   in Loop: Header=BB28_31 Depth=1
	global_load_dwordx4 v[8:11], v[15:16], off
	v_add_co_u32 v0, s3, v15, s4
	v_add_co_ci_u32_e64 v1, null, s5, v16, s3
	v_add_nc_u32_e32 v19, v44, v37
	v_add_nc_u32_e32 v20, v43, v37
	;; [unrolled: 1-line block ×3, first 2 shown]
	global_load_dwordx4 v[4:7], v[0:1], off
	v_add_co_u32 v0, s3, v0, s4
	v_add_co_ci_u32_e64 v1, null, s5, v1, s3
	v_add_nc_u32_e32 v22, v41, v37
	v_cvt_f32_u32_e32 v23, v19
	v_mov_b32_e32 v45, s22
	global_load_dwordx4 v[0:3], v[0:1], off
	v_cvt_f32_u32_e32 v24, v20
	v_cvt_f32_u32_e32 v27, v21
	v_cvt_f32_u32_e32 v28, v22
	v_cvt_f16_f32_e32 v25, v23
	v_mad_u32_u24 v26, v19, s17, 0xe400e400
	v_mad_u32_u24 v48, v20, s17, 0xe400e400
	;; [unrolled: 1-line block ×4, first 2 shown]
	ds_read2_b32 v[90:91], v45 offset1:1
	ds_read2_b32 v[21:22], v45 offset0:2 offset1:3
	ds_read2_b32 v[92:93], v45 offset0:64 offset1:65
	;; [unrolled: 1-line block ×4, first 2 shown]
	v_cvt_f16_f32_e32 v87, v24
	v_cvt_f16_f32_e32 v86, v27
	;; [unrolled: 1-line block ×3, first 2 shown]
	v_sub_f16_e32 v27, 0xd800, v25
	ds_read2_b32 v[23:24], v45 offset0:130 offset1:131
	ds_read2_b32 v[96:97], v45 offset0:192 offset1:193
	v_sub_f16_e32 v28, 0xd800, v87
	v_sub_f16_e32 v49, 0xd800, v86
	;; [unrolled: 1-line block ×3, first 2 shown]
	v_mul_u32_u24_sdwa v62, v27, v40 dst_sel:DWORD dst_unused:UNUSED_PAD src0_sel:WORD_0 src1_sel:DWORD
	v_sub_f16_e32 v87, 0xcc00, v87
	v_mul_u32_u24_sdwa v61, v28, v40 dst_sel:DWORD dst_unused:UNUSED_PAD src0_sel:WORD_0 src1_sel:DWORD
	v_mul_u32_u24_sdwa v60, v49, v40 dst_sel:DWORD dst_unused:UNUSED_PAD src0_sel:WORD_0 src1_sel:DWORD
	v_mul_u32_u24_sdwa v28, v50, v40 dst_sel:DWORD dst_unused:UNUSED_PAD src0_sel:WORD_0 src1_sel:DWORD
	v_sub_f16_e32 v84, 0xcc00, v84
	v_add_co_u32 v15, s3, v15, s9
	v_add_co_ci_u32_e64 v16, null, s8, v16, s3
	s_add_i32 s20, s20, 32
	s_add_i32 s22, s22, 64
	s_cmp_ge_i32 s20, s21
	s_waitcnt vmcnt(2)
	v_and_or_b32 v27, v8, s19, 0x64006400
	v_and_or_b32 v49, v8, s24, 0x64006400
	v_lshrrev_b32_e32 v88, 6, v8
	v_lshrrev_b32_e32 v71, 15, v8
	v_and_or_b32 v8, v9, s19, 0x64006400
	v_and_or_b32 v50, v9, s24, 0x64006400
	v_lshrrev_b32_e32 v89, 6, v9
	v_lshrrev_b32_e32 v70, 15, v9
	;; [unrolled: 4-line block ×4, first 2 shown]
	v_pk_add_f16 v11, v26, v27
	v_pk_fma_f16 v98, 0x3000, v49, v62 op_sel_hi:[0,1,1]
	v_pk_add_f16 v99, v48, v8
	v_pk_add_f16 v101, v46, v9
	;; [unrolled: 1-line block ×3, first 2 shown]
	s_waitcnt vmcnt(1)
	v_and_or_b32 v8, v4, s19, 0x64006400
	v_and_or_b32 v79, v4, s24, 0x64006400
	v_lshrrev_b32_e32 v27, 6, v4
	v_lshrrev_b32_e32 v77, 14, v4
	s_waitcnt lgkmcnt(6)
	v_pk_fma_f16 v4, v11, v90, 0
	v_pk_fma_f16 v100, 0x3000, v50, v61 op_sel_hi:[0,1,1]
	v_pk_fma_f16 v102, 0x3000, v51, v60 op_sel_hi:[0,1,1]
	;; [unrolled: 1-line block ×3, first 2 shown]
	v_and_or_b32 v9, v5, s19, 0x64006400
	v_and_or_b32 v80, v5, s24, 0x64006400
	v_lshrrev_b32_e32 v51, 6, v5
	v_lshrrev_b32_e32 v78, 14, v5
	v_and_or_b32 v10, v6, s19, 0x64006400
	v_and_or_b32 v81, v6, s24, 0x64006400
	v_lshrrev_b32_e32 v52, 6, v6
	v_lshrrev_b32_e32 v76, 14, v6
	;; [unrolled: 4-line block ×3, first 2 shown]
	v_pk_fma_f16 v5, v99, v90, 0
	v_pk_fma_f16 v7, v101, v90, 0
	;; [unrolled: 1-line block ×3, first 2 shown]
	s_waitcnt lgkmcnt(4)
	v_pk_fma_f16 v105, v11, v92, 0
	s_waitcnt vmcnt(0)
	v_and_or_b32 v56, v0, s19, 0x64006400
	v_and_or_b32 v74, v0, s24, 0x64006400
	v_lshrrev_b32_e32 v58, 6, v0
	v_lshrrev_b32_e32 v67, 13, v0
	v_and_or_b32 v57, v1, s19, 0x64006400
	v_and_or_b32 v72, v1, s24, 0x64006400
	v_lshrrev_b32_e32 v59, 6, v1
	v_lshrrev_b32_e32 v65, 13, v1
	;; [unrolled: 4-line block ×4, first 2 shown]
	v_pk_fma_f16 v0, v99, v92, 0
	v_pk_fma_f16 v1, v101, v92, 0
	;; [unrolled: 1-line block ×4, first 2 shown]
	s_waitcnt lgkmcnt(2)
	v_pk_fma_f16 v3, v11, v94, 0
	v_pk_fma_f16 v4, v99, v94, 0
	;; [unrolled: 1-line block ×11, first 2 shown]
	s_waitcnt lgkmcnt(0)
	v_pk_fma_f16 v2, v11, v96, 0
	v_pk_fma_f16 v11, v98, v95, v3
	;; [unrolled: 1-line block ×3, first 2 shown]
	ds_read2_b32 v[3:4], v45 offset0:194 offset1:195
	v_pk_fma_f16 v109, v102, v95, v0
	v_pk_fma_f16 v110, v104, v95, v1
	;; [unrolled: 1-line block ×5, first 2 shown]
	v_and_or_b32 v2, v88, s19, 0x64006400
	v_pk_fma_f16 v94, v103, v96, 0
	v_pk_fma_f16 v98, v100, v97, v0
	;; [unrolled: 1-line block ×3, first 2 shown]
	v_and_or_b32 v0, v89, s19, 0x64006400
	v_pk_add_f16 v1, v26, v2
	v_pk_fma_f16 v102, v104, v97, v94
	v_and_or_b32 v100, v83, s19, 0x64006400
	v_and_or_b32 v99, v88, s24, 0x64006400
	v_pk_add_f16 v104, v48, v0
	v_pk_fma_f16 v95, v1, v19, v7
	v_and_or_b32 v7, v85, s19, 0x64006400
	v_and_or_b32 v97, v89, s24, 0x64006400
	;; [unrolled: 1-line block ×3, first 2 shown]
	v_pk_fma_f16 v0, v1, v21, v92
	v_pk_fma_f16 v2, v1, v23, v11
	s_waitcnt lgkmcnt(0)
	v_pk_fma_f16 v90, v1, v3, v90
	v_pk_fma_f16 v1, v104, v21, v5
	;; [unrolled: 1-line block ×5, first 2 shown]
	v_and_or_b32 v11, v85, s24, 0x64006400
	v_pk_add_f16 v104, v46, v100
	v_pk_add_f16 v111, v47, v7
	v_pk_fma_f16 v92, 0x3000, v99, v62 op_sel_hi:[0,1,1]
	v_pk_fma_f16 v93, 0x3000, v97, v61 op_sel_hi:[0,1,1]
	;; [unrolled: 1-line block ×4, first 2 shown]
	v_pk_fma_f16 v99, v104, v21, v106
	v_pk_fma_f16 v100, v111, v21, v107
	;; [unrolled: 1-line block ×8, first 2 shown]
	ds_read2_b32 v[102:103], v45 offset0:4 offset1:5
	v_pk_fma_f16 v104, v92, v22, v0
	v_pk_fma_f16 v105, v93, v22, v1
	;; [unrolled: 1-line block ×8, first 2 shown]
	ds_read2_b32 v[95:96], v45 offset0:68 offset1:69
	v_pk_fma_f16 v20, v92, v24, v2
	v_pk_fma_f16 v94, v93, v24, v94
	;; [unrolled: 1-line block ×5, first 2 shown]
	ds_read2_b32 v[22:23], v45 offset0:132 offset1:133
	v_sub_f16_e32 v92, 0xcc00, v25
	ds_read2_b32 v[24:25], v45 offset0:196 offset1:197
	v_pk_fma_f16 v7, v7, v4, v19
	v_sub_f16_e32 v19, 0xcc00, v86
	v_mul_u32_u24_sdwa v99, v87, v40 dst_sel:DWORD dst_unused:UNUSED_PAD src0_sel:WORD_0 src1_sel:DWORD
	v_mul_u32_u24_sdwa v101, v92, v40 dst_sel:DWORD dst_unused:UNUSED_PAD src0_sel:WORD_0 src1_sel:DWORD
	v_and_or_b32 v86, v88, s25, 0x64006400
	v_and_or_b32 v87, v89, s25, 0x64006400
	v_mul_u32_u24_sdwa v100, v19, v40 dst_sel:DWORD dst_unused:UNUSED_PAD src0_sel:WORD_0 src1_sel:DWORD
	v_mul_u32_u24_sdwa v98, v84, v40 dst_sel:DWORD dst_unused:UNUSED_PAD src0_sel:WORD_0 src1_sel:DWORD
	v_and_or_b32 v83, v83, s25, 0x64006400
	v_and_or_b32 v84, v85, s25, 0x64006400
	v_pk_fma_f16 v11, v5, v4, v11
	v_pk_fma_f16 v19, 0x2400, v86, v101 op_sel_hi:[0,1,1]
	v_pk_fma_f16 v86, 0x2400, v87, v99 op_sel_hi:[0,1,1]
	;; [unrolled: 1-line block ×4, first 2 shown]
	ds_read2_b32 v[0:1], v45 offset0:6 offset1:7
	ds_read2_b32 v[2:3], v45 offset0:70 offset1:71
	v_pk_fma_f16 v91, v93, v4, v91
	s_waitcnt lgkmcnt(4)
	v_pk_fma_f16 v88, v19, v95, v108
	v_pk_fma_f16 v89, v86, v95, v109
	v_pk_add_f16 v108, v26, v8
	v_pk_add_f16 v109, v48, v9
	;; [unrolled: 1-line block ×4, first 2 shown]
	v_pk_fma_f16 v9, v83, v95, v97
	s_waitcnt lgkmcnt(2)
	v_pk_fma_f16 v97, v83, v24, v11
	ds_read2_b32 v[10:11], v45 offset0:10 offset1:11
	v_pk_fma_f16 v85, v19, v102, v104
	v_pk_fma_f16 v87, v86, v102, v105
	;; [unrolled: 1-line block ×16, first 2 shown]
	v_and_b32_e32 v77, 0x20002, v77
	v_pk_fma_f16 v103, v113, v25, v102
	v_and_or_b32 v102, v51, s24, 0x64006400
	v_pk_fma_f16 v87, v108, v96, v88
	v_pk_fma_f16 v91, v108, v23, v92
	;; [unrolled: 1-line block ×6, first 2 shown]
	v_and_or_b32 v104, v27, s24, 0x64006400
	v_and_b32_e32 v78, 0x20002, v78
	v_and_or_b32 v77, 0x10001, v71, v77
	v_and_or_b32 v71, v52, s24, 0x64006400
	v_and_b32_e32 v106, 0x20002, v76
	v_and_b32_e32 v108, 0x20002, v75
	v_pk_fma_f16 v75, 0x3000, v102, v61 op_sel_hi:[0,1,1]
	v_and_or_b32 v102, v58, s24, 0x64006400
	v_pk_fma_f16 v88, v109, v96, v89
	v_pk_fma_f16 v89, v112, v96, v9
	;; [unrolled: 1-line block ×4, first 2 shown]
	v_pk_fma_f16 v79, 0x3000, v79, v62 op_sel_hi:[0,1,1]
	v_pk_fma_f16 v97, v112, v25, v97
	v_and_or_b32 v25, v27, s25, 0x64006400
	v_and_or_b32 v78, 0x10001, v70, v78
	;; [unrolled: 1-line block ×3, first 2 shown]
	v_pk_fma_f16 v76, 0x3000, v104, v62 op_sel_hi:[0,1,1]
	v_and_or_b32 v104, 0x10001, v68, v106
	v_pk_fma_f16 v68, 0x3000, v71, v60 op_sel_hi:[0,1,1]
	v_pk_fma_f16 v70, 0x3000, v74, v62 op_sel_hi:[0,1,1]
	v_and_or_b32 v106, 0x10001, v66, v108
	v_and_or_b32 v66, v59, s24, 0x64006400
	v_pk_fma_f16 v71, 0x3000, v102, v62 op_sel_hi:[0,1,1]
	v_and_or_b32 v102, v53, s24, 0x64006400
	v_pk_fma_f16 v62, 0x3000, v73, v60 op_sel_hi:[0,1,1]
	v_and_b32_e32 v73, 0x40004, v67
	ds_read2_b32 v[4:5], v45 offset0:134 offset1:135
	ds_read2_b32 v[19:20], v45 offset0:198 offset1:199
	v_pk_fma_f16 v80, 0x3000, v80, v61 op_sel_hi:[0,1,1]
	v_pk_fma_f16 v81, 0x3000, v81, v60 op_sel_hi:[0,1,1]
	;; [unrolled: 1-line block ×4, first 2 shown]
	v_and_or_b32 v61, v55, s24, 0x64006400
	v_pk_fma_f16 v60, 0x3000, v102, v60 op_sel_hi:[0,1,1]
	v_pk_fma_f16 v67, 0x3000, v107, v28 op_sel_hi:[0,1,1]
	;; [unrolled: 1-line block ×3, first 2 shown]
	v_or3_b32 v107, v77, v73, 0x64006400
	v_and_or_b32 v69, v58, s25, 0x64006400
	v_pk_fma_f16 v102, 0x2400, v25, v101 op_sel_hi:[0,1,1]
	v_and_b32_e32 v25, 0x40004, v65
	v_and_or_b32 v77, v59, s25, 0x64006400
	ds_read2_b32 v[21:22], v45 offset0:8 offset1:9
	ds_read2_b32 v[8:9], v45 offset0:12 offset1:13
	;; [unrolled: 1-line block ×4, first 2 shown]
	v_pk_fma_f16 v82, 0x3000, v82, v28 op_sel_hi:[0,1,1]
	v_and_or_b32 v105, v51, s25, 0x64006400
	v_pk_fma_f16 v61, 0x3000, v61, v28 op_sel_hi:[0,1,1]
	v_and_or_b32 v28, v54, s25, 0x64006400
	v_pk_fma_f16 v69, 0x2400, v69, v101 op_sel_hi:[0,1,1]
	v_and_b32_e32 v101, 0x40004, v64
	v_or3_b32 v25, v78, v25, 0x64006400
	v_and_or_b32 v78, v53, s25, 0x64006400
	v_pk_fma_f16 v64, 0x2400, v77, v99 op_sel_hi:[0,1,1]
	v_and_or_b32 v77, v55, s25, 0x64006400
	v_and_or_b32 v108, v52, s25, 0x64006400
	v_pk_fma_f16 v73, 0x2400, v105, v99 op_sel_hi:[0,1,1]
	v_and_b32_e32 v105, 0x40004, v63
	v_or3_b32 v101, v104, v101, 0x64006400
	v_pk_fma_f16 v63, 0x2400, v78, v100 op_sel_hi:[0,1,1]
	v_and_or_b32 v104, v27, s19, 0x64006400
	v_pk_fma_f16 v78, 0x2400, v28, v98 op_sel_hi:[0,1,1]
	v_pk_fma_f16 v77, 0x2400, v77, v98 op_sel_hi:[0,1,1]
	v_and_or_b32 v51, v51, s19, 0x64006400
	v_and_or_b32 v52, v52, s19, 0x64006400
	;; [unrolled: 1-line block ×6, first 2 shown]
	v_pk_fma_f16 v65, 0x2400, v108, v100 op_sel_hi:[0,1,1]
	v_or3_b32 v105, v106, v105, 0x64006400
	v_pk_add_f16 v106, v26, v104
	v_pk_add_f16 v108, v48, v51
	;; [unrolled: 1-line block ×6, first 2 shown]
	v_and_or_b32 v104, v53, s19, 0x64006400
	v_pk_add_f16 v98, v47, v98
	v_pk_add_f16 v53, v47, v50
	;; [unrolled: 1-line block ×3, first 2 shown]
	s_waitcnt lgkmcnt(8)
	v_pk_fma_f16 v55, v79, v0, v83
	v_pk_fma_f16 v83, v80, v0, v84
	;; [unrolled: 1-line block ×4, first 2 shown]
	ds_read2_b32 v[99:100], v45 offset0:74 offset1:75
	ds_read2_b32 v[27:28], v45 offset0:76 offset1:77
	v_pk_add_f16 v57, v48, v57
	v_pk_add_f16 v51, v26, v107
	;; [unrolled: 1-line block ×3, first 2 shown]
	ds_read2_b32 v[25:26], v45 offset0:78 offset1:79
	s_waitcnt lgkmcnt(10)
	v_pk_fma_f16 v85, v79, v2, v87
	v_pk_fma_f16 v86, v80, v2, v88
	v_pk_fma_f16 v87, v81, v2, v89
	v_pk_fma_f16 v2, v82, v2, v90
	s_waitcnt lgkmcnt(8)
	v_pk_fma_f16 v88, v79, v4, v91
	v_pk_fma_f16 v89, v80, v4, v92
	v_pk_fma_f16 v90, v81, v4, v93
	v_pk_fma_f16 v4, v82, v4, v94
	;; [unrolled: 5-line block ×3, first 2 shown]
	v_pk_fma_f16 v55, v106, v1, v55
	v_pk_fma_f16 v82, v108, v1, v83
	;; [unrolled: 1-line block ×12, first 2 shown]
	s_waitcnt lgkmcnt(6)
	v_pk_fma_f16 v3, v76, v21, v55
	v_pk_fma_f16 v4, v75, v21, v82
	v_pk_fma_f16 v5, v68, v21, v83
	v_pk_fma_f16 v0, v67, v21, v0
	v_pk_add_f16 v52, v46, v49
	v_pk_fma_f16 v3, v102, v22, v3
	v_pk_fma_f16 v4, v73, v22, v4
	v_pk_fma_f16 v5, v65, v22, v5
	v_pk_fma_f16 v0, v78, v22, v0
	v_pk_add_f16 v49, v46, v104
	;; [unrolled: 5-line block ×3, first 2 shown]
	ds_read2_b32 v[104:105], v45 offset0:136 offset1:137
	v_pk_fma_f16 v3, v70, v11, v3
	v_pk_fma_f16 v4, v74, v11, v4
	;; [unrolled: 1-line block ×4, first 2 shown]
	s_waitcnt lgkmcnt(4)
	v_pk_fma_f16 v1, v76, v23, v1
	v_pk_fma_f16 v2, v67, v23, v2
	;; [unrolled: 1-line block ×18, first 2 shown]
	v_pk_add_f16 v46, v46, v101
	v_pk_fma_f16 v20, v73, v24, v20
	v_pk_fma_f16 v21, v65, v24, v21
	s_waitcnt lgkmcnt(3)
	v_pk_fma_f16 v1, v58, v99, v1
	v_pk_fma_f16 v2, v53, v99, v2
	;; [unrolled: 1-line block ×13, first 2 shown]
	ds_read2_b32 v[0:1], v45 offset0:138 offset1:139
	ds_read2_b32 v[4:5], v45 offset0:142 offset1:143
	v_pk_fma_f16 v11, v66, v100, v2
	ds_read2_b32 v[2:3], v45 offset0:140 offset1:141
	s_waitcnt lgkmcnt(3)
	v_pk_fma_f16 v6, v76, v104, v86
	v_pk_fma_f16 v7, v75, v104, v87
	;; [unrolled: 1-line block ×7, first 2 shown]
	ds_read2_b32 v[6:7], v45 offset0:200 offset1:201
	v_pk_fma_f16 v55, v67, v104, v89
	v_pk_fma_f16 v9, v56, v27, v9
	;; [unrolled: 1-line block ×9, first 2 shown]
	ds_read2_b32 v[8:9], v45 offset0:202 offset1:203
	s_waitcnt lgkmcnt(4)
	v_pk_fma_f16 v81, v58, v0, v81
	v_pk_fma_f16 v82, v57, v0, v82
	;; [unrolled: 1-line block ×10, first 2 shown]
	ds_read2_b32 v[0:1], v45 offset0:204 offset1:205
	s_waitcnt lgkmcnt(2)
	v_pk_fma_f16 v76, v76, v6, v79
	v_pk_fma_f16 v10, v64, v25, v10
	;; [unrolled: 1-line block ×8, first 2 shown]
	ds_read2_b32 v[10:11], v45 offset0:206 offset1:207
	v_pk_fma_f16 v27, v51, v26, v27
	s_waitcnt lgkmcnt(2)
	v_pk_fma_f16 v45, v58, v8, v76
	v_pk_fma_f16 v58, v73, v7, v75
	;; [unrolled: 1-line block ×10, first 2 shown]
	s_waitcnt lgkmcnt(1)
	v_pk_fma_f16 v28, v56, v0, v28
	v_pk_fma_f16 v45, v74, v9, v45
	;; [unrolled: 1-line block ×11, first 2 shown]
	s_waitcnt lgkmcnt(0)
	v_pk_fma_f16 v26, v69, v10, v28
	v_pk_fma_f16 v28, v72, v1, v45
	;; [unrolled: 1-line block ×11, first 2 shown]
	v_pack_b32_f16 v8, v20, v21
	v_perm_b32 v20, v21, v20, 0x7060302
	v_pk_fma_f16 v4, v48, v5, v54
	v_pk_fma_f16 v21, v62, v9, v24
	;; [unrolled: 1-line block ×5, first 2 shown]
	v_pack_b32_f16 v26, v3, v4
	v_pk_fma_f16 v21, v49, v0, v21
	v_pk_fma_f16 v0, v50, v0, v6
	v_perm_b32 v3, v4, v3, 0x7060302
	v_pk_add_f16 v4, v8, v20
	v_pk_fma_f16 v7, v64, v10, v28
	v_pk_fma_f16 v8, v60, v1, v21
	;; [unrolled: 1-line block ×3, first 2 shown]
	v_pack_b32_f16 v9, v27, v80
	v_perm_b32 v24, v80, v27, 0x7060302
	v_pk_add_f16 v1, v26, v3
	v_pk_fma_f16 v3, v63, v10, v8
	v_pk_fma_f16 v0, v77, v10, v0
	;; [unrolled: 1-line block ×3, first 2 shown]
	v_pk_add_f16 v6, v9, v24
	v_pk_fma_f16 v36, v4, v17, v36
	v_pk_fma_f16 v3, v46, v11, v3
	;; [unrolled: 1-line block ×5, first 2 shown]
	v_pack_b32_f16 v1, v5, v7
	v_perm_b32 v4, v7, v5, 0x7060302
	v_pack_b32_f16 v5, v22, v23
	v_perm_b32 v6, v23, v22, 0x7060302
	;; [unrolled: 2-line block ×5, first 2 shown]
	v_pk_add_f16 v1, v1, v4
	v_pk_add_f16 v3, v5, v6
	;; [unrolled: 1-line block ×5, first 2 shown]
	v_pk_fma_f16 v29, v1, v17, v29
	v_pk_fma_f16 v35, v3, v18, v35
	;; [unrolled: 1-line block ×5, first 2 shown]
	s_cbranch_scc1 .LBB28_48
.LBB28_31:                              ; =>This Inner Loop Header: Depth=1
	s_cmp_lg_u32 s20, s23
	s_cbranch_scc1 .LBB28_30
; %bb.32:                               ;   in Loop: Header=BB28_31 Depth=1
	s_add_i32 s18, s18, 1
                                        ; implicit-def: $vgpr2
	s_mul_i32 s26, s18, s16
	s_ashr_i32 s3, s26, 31
	s_lshr_b32 s3, s3, 27
	s_add_i32 s3, s26, s3
	s_ashr_i32 s3, s3, 5
	v_mad_u64_u32 v[0:1], null, s3, 3, v[14:15]
	v_ashrrev_i32_e32 v1, 31, v0
	v_lshlrev_b64 v[0:1], 2, v[0:1]
	v_add_co_u32 v0, s3, s10, v0
	v_add_co_ci_u32_e64 v1, null, s11, v1, s3
	global_load_dword v3, v[0:1], off
	s_and_saveexec_b32 s3, vcc_lo
	s_xor_b32 s3, exec_lo, s3
	s_cbranch_execz .LBB28_46
; %bb.33:                               ;   in Loop: Header=BB28_31 Depth=1
                                        ; implicit-def: $vgpr2
	s_and_saveexec_b32 s27, s0
	s_xor_b32 s27, exec_lo, s27
	s_cbranch_execz .LBB28_43
; %bb.34:                               ;   in Loop: Header=BB28_31 Depth=1
                                        ; implicit-def: $vgpr2
	s_and_saveexec_b32 s28, s1
	;; [unrolled: 5-line block ×3, first 2 shown]
	s_xor_b32 s29, exec_lo, s29
	s_cbranch_execz .LBB28_37
; %bb.36:                               ;   in Loop: Header=BB28_31 Depth=1
	s_waitcnt vmcnt(0)
	v_lshrrev_b32_e32 v2, v38, v3
                                        ; implicit-def: $vgpr0_vgpr1
                                        ; implicit-def: $vgpr3
.LBB28_37:                              ;   in Loop: Header=BB28_31 Depth=1
	s_andn2_saveexec_b32 s29, s29
	s_cbranch_execz .LBB28_39
; %bb.38:                               ;   in Loop: Header=BB28_31 Depth=1
	global_load_dword v0, v[0:1], off offset:4
	s_waitcnt vmcnt(0)
	v_alignbit_b32 v0, v0, v3, 28
	v_and_b32_e32 v2, 0xfff, v0
.LBB28_39:                              ;   in Loop: Header=BB28_31 Depth=1
	s_or_b32 exec_lo, exec_lo, s29
                                        ; implicit-def: $vgpr3
.LBB28_40:                              ;   in Loop: Header=BB28_31 Depth=1
	s_andn2_saveexec_b32 s28, s28
	s_cbranch_execz .LBB28_42
; %bb.41:                               ;   in Loop: Header=BB28_31 Depth=1
	s_waitcnt vmcnt(0)
	v_lshrrev_b32_e32 v2, v39, v3
.LBB28_42:                              ;   in Loop: Header=BB28_31 Depth=1
	s_or_b32 exec_lo, exec_lo, s28
                                        ; implicit-def: $vgpr0_vgpr1
                                        ; implicit-def: $vgpr3
.LBB28_43:                              ;   in Loop: Header=BB28_31 Depth=1
	s_andn2_saveexec_b32 s27, s27
	s_cbranch_execz .LBB28_45
; %bb.44:                               ;   in Loop: Header=BB28_31 Depth=1
	global_load_dword v0, v[0:1], off offset:4
	s_waitcnt vmcnt(0)
	v_perm_b32 v0, v3, v0, 0x2010007
	v_and_b32_e32 v2, 0xfff, v0
.LBB28_45:                              ;   in Loop: Header=BB28_31 Depth=1
	s_or_b32 exec_lo, exec_lo, s27
                                        ; implicit-def: $vgpr3
.LBB28_46:                              ;   in Loop: Header=BB28_31 Depth=1
	s_andn2_saveexec_b32 s3, s3
	s_cbranch_execz .LBB28_29
; %bb.47:                               ;   in Loop: Header=BB28_31 Depth=1
	s_waitcnt vmcnt(0)
	v_lshrrev_b32_e32 v2, v32, v3
	s_branch .LBB28_29
.LBB28_48:
	v_mad_u64_u32 v[0:1], null, s7, s16, v[12:13]
	s_mov_b32 s0, 0
	v_ashrrev_i32_e32 v1, 31, v0
	v_lshlrev_b64 v[1:2], 1, v[0:1]
	v_add_co_u32 v1, vcc_lo, s14, v1
	v_add_co_ci_u32_e64 v2, null, s15, v2, vcc_lo
	global_load_dword v4, v[1:2], off
.LBB28_49:                              ; =>This Inner Loop Header: Depth=1
	s_waitcnt vmcnt(0)
	v_pk_add_f16 v3, v36, v4
	global_atomic_cmpswap v3, v[1:2], v[3:4], off glc
	s_waitcnt vmcnt(0)
	v_cmp_eq_u32_e32 vcc_lo, v4, v3
	v_mov_b32_e32 v4, v3
	s_or_b32 s0, vcc_lo, s0
	s_andn2_b32 exec_lo, exec_lo, s0
	s_cbranch_execnz .LBB28_49
; %bb.50:
	s_or_b32 exec_lo, exec_lo, s0
	global_load_dword v4, v[1:2], off offset:4
	s_mov_b32 s0, 0
.LBB28_51:                              ; =>This Inner Loop Header: Depth=1
	s_waitcnt vmcnt(0)
	v_pk_add_f16 v3, v35, v4
	global_atomic_cmpswap v3, v[1:2], v[3:4], off offset:4 glc
	s_waitcnt vmcnt(0)
	v_cmp_eq_u32_e32 vcc_lo, v4, v3
	v_mov_b32_e32 v4, v3
	s_or_b32 s0, vcc_lo, s0
	s_andn2_b32 exec_lo, exec_lo, s0
	s_cbranch_execnz .LBB28_51
; %bb.52:
	s_or_b32 exec_lo, exec_lo, s0
	v_add_nc_u32_e32 v0, s16, v0
	s_mov_b32 s0, 0
	v_ashrrev_i32_e32 v1, 31, v0
	v_lshlrev_b64 v[1:2], 1, v[0:1]
	v_add_co_u32 v1, vcc_lo, s14, v1
	v_add_co_ci_u32_e64 v2, null, s15, v2, vcc_lo
	global_load_dword v4, v[1:2], off
.LBB28_53:                              ; =>This Inner Loop Header: Depth=1
	s_waitcnt vmcnt(0)
	v_pk_add_f16 v3, v34, v4
	global_atomic_cmpswap v3, v[1:2], v[3:4], off glc
	s_waitcnt vmcnt(0)
	v_cmp_eq_u32_e32 vcc_lo, v4, v3
	v_mov_b32_e32 v4, v3
	s_or_b32 s0, vcc_lo, s0
	s_andn2_b32 exec_lo, exec_lo, s0
	s_cbranch_execnz .LBB28_53
; %bb.54:
	s_or_b32 exec_lo, exec_lo, s0
	global_load_dword v4, v[1:2], off offset:4
	s_mov_b32 s0, 0
.LBB28_55:                              ; =>This Inner Loop Header: Depth=1
	s_waitcnt vmcnt(0)
	v_pk_add_f16 v3, v33, v4
	global_atomic_cmpswap v3, v[1:2], v[3:4], off offset:4 glc
	s_waitcnt vmcnt(0)
	v_cmp_eq_u32_e32 vcc_lo, v4, v3
	v_mov_b32_e32 v4, v3
	s_or_b32 s0, vcc_lo, s0
	s_andn2_b32 exec_lo, exec_lo, s0
	s_cbranch_execnz .LBB28_55
; %bb.56:
	s_or_b32 exec_lo, exec_lo, s0
	v_add_nc_u32_e32 v0, s16, v0
	s_mov_b32 s0, 0
	v_ashrrev_i32_e32 v1, 31, v0
	v_lshlrev_b64 v[1:2], 1, v[0:1]
	v_add_co_u32 v1, vcc_lo, s14, v1
	v_add_co_ci_u32_e64 v2, null, s15, v2, vcc_lo
	global_load_dword v4, v[1:2], off
.LBB28_57:                              ; =>This Inner Loop Header: Depth=1
	s_waitcnt vmcnt(0)
	v_pk_add_f16 v3, v31, v4
	global_atomic_cmpswap v3, v[1:2], v[3:4], off glc
	s_waitcnt vmcnt(0)
	v_cmp_eq_u32_e32 vcc_lo, v4, v3
	v_mov_b32_e32 v4, v3
	s_or_b32 s0, vcc_lo, s0
	s_andn2_b32 exec_lo, exec_lo, s0
	s_cbranch_execnz .LBB28_57
; %bb.58:
	s_or_b32 exec_lo, exec_lo, s0
	global_load_dword v4, v[1:2], off offset:4
	s_mov_b32 s0, 0
.LBB28_59:                              ; =>This Inner Loop Header: Depth=1
	s_waitcnt vmcnt(0)
	v_pk_add_f16 v3, v30, v4
	global_atomic_cmpswap v3, v[1:2], v[3:4], off offset:4 glc
	s_waitcnt vmcnt(0)
	v_cmp_eq_u32_e32 vcc_lo, v4, v3
	v_mov_b32_e32 v4, v3
	s_or_b32 s0, vcc_lo, s0
	s_andn2_b32 exec_lo, exec_lo, s0
	s_cbranch_execnz .LBB28_59
; %bb.60:
	s_or_b32 exec_lo, exec_lo, s0
	v_add_nc_u32_e32 v0, s16, v0
	s_mov_b32 s0, 0
	v_ashrrev_i32_e32 v1, 31, v0
	v_lshlrev_b64 v[0:1], 1, v[0:1]
	v_add_co_u32 v0, vcc_lo, s14, v0
	v_add_co_ci_u32_e64 v1, null, s15, v1, vcc_lo
	global_load_dword v3, v[0:1], off
.LBB28_61:                              ; =>This Inner Loop Header: Depth=1
	s_waitcnt vmcnt(0)
	v_pk_add_f16 v2, v29, v3
	global_atomic_cmpswap v2, v[0:1], v[2:3], off glc
	s_waitcnt vmcnt(0)
	v_cmp_eq_u32_e32 vcc_lo, v3, v2
	v_mov_b32_e32 v3, v2
	s_or_b32 s0, vcc_lo, s0
	s_andn2_b32 exec_lo, exec_lo, s0
	s_cbranch_execnz .LBB28_61
; %bb.62:
	s_or_b32 exec_lo, exec_lo, s0
	global_load_dword v3, v[0:1], off offset:4
	s_mov_b32 s0, 0
.LBB28_63:                              ; =>This Inner Loop Header: Depth=1
	s_waitcnt vmcnt(0)
	v_pk_add_f16 v2, v13, v3
	global_atomic_cmpswap v2, v[0:1], v[2:3], off offset:4 glc
	s_waitcnt vmcnt(0)
	v_cmp_eq_u32_e32 vcc_lo, v3, v2
	v_mov_b32_e32 v3, v2
	s_or_b32 s0, vcc_lo, s0
	s_andn2_b32 exec_lo, exec_lo, s0
	s_cbranch_execnz .LBB28_63
.LBB28_64:
	s_endpgm
	.section	.rodata,"a",@progbits
	.p2align	6, 0x0
	.amdhsa_kernel _ZN4vllm4gptq33gemm_half_q_half_gptq_3bit_kernelILb1ELi4EEEvPK6__halfPKjS6_S4_PS2_iiiibPKi
		.amdhsa_group_segment_fixed_size 1024
		.amdhsa_private_segment_fixed_size 0
		.amdhsa_kernarg_size 72
		.amdhsa_user_sgpr_count 6
		.amdhsa_user_sgpr_private_segment_buffer 1
		.amdhsa_user_sgpr_dispatch_ptr 0
		.amdhsa_user_sgpr_queue_ptr 0
		.amdhsa_user_sgpr_kernarg_segment_ptr 1
		.amdhsa_user_sgpr_dispatch_id 0
		.amdhsa_user_sgpr_flat_scratch_init 0
		.amdhsa_user_sgpr_private_segment_size 0
		.amdhsa_wavefront_size32 1
		.amdhsa_uses_dynamic_stack 0
		.amdhsa_system_sgpr_private_segment_wavefront_offset 0
		.amdhsa_system_sgpr_workgroup_id_x 1
		.amdhsa_system_sgpr_workgroup_id_y 1
		.amdhsa_system_sgpr_workgroup_id_z 1
		.amdhsa_system_sgpr_workgroup_info 0
		.amdhsa_system_vgpr_workitem_id 0
		.amdhsa_next_free_vgpr 114
		.amdhsa_next_free_sgpr 30
		.amdhsa_reserve_vcc 1
		.amdhsa_reserve_flat_scratch 0
		.amdhsa_float_round_mode_32 0
		.amdhsa_float_round_mode_16_64 0
		.amdhsa_float_denorm_mode_32 3
		.amdhsa_float_denorm_mode_16_64 3
		.amdhsa_dx10_clamp 1
		.amdhsa_ieee_mode 1
		.amdhsa_fp16_overflow 0
		.amdhsa_workgroup_processor_mode 1
		.amdhsa_memory_ordered 1
		.amdhsa_forward_progress 1
		.amdhsa_shared_vgpr_count 0
		.amdhsa_exception_fp_ieee_invalid_op 0
		.amdhsa_exception_fp_denorm_src 0
		.amdhsa_exception_fp_ieee_div_zero 0
		.amdhsa_exception_fp_ieee_overflow 0
		.amdhsa_exception_fp_ieee_underflow 0
		.amdhsa_exception_fp_ieee_inexact 0
		.amdhsa_exception_int_div_zero 0
	.end_amdhsa_kernel
	.section	.text._ZN4vllm4gptq33gemm_half_q_half_gptq_3bit_kernelILb1ELi4EEEvPK6__halfPKjS6_S4_PS2_iiiibPKi,"axG",@progbits,_ZN4vllm4gptq33gemm_half_q_half_gptq_3bit_kernelILb1ELi4EEEvPK6__halfPKjS6_S4_PS2_iiiibPKi,comdat
.Lfunc_end28:
	.size	_ZN4vllm4gptq33gemm_half_q_half_gptq_3bit_kernelILb1ELi4EEEvPK6__halfPKjS6_S4_PS2_iiiibPKi, .Lfunc_end28-_ZN4vllm4gptq33gemm_half_q_half_gptq_3bit_kernelILb1ELi4EEEvPK6__halfPKjS6_S4_PS2_iiiibPKi
                                        ; -- End function
	.set _ZN4vllm4gptq33gemm_half_q_half_gptq_3bit_kernelILb1ELi4EEEvPK6__halfPKjS6_S4_PS2_iiiibPKi.num_vgpr, 114
	.set _ZN4vllm4gptq33gemm_half_q_half_gptq_3bit_kernelILb1ELi4EEEvPK6__halfPKjS6_S4_PS2_iiiibPKi.num_agpr, 0
	.set _ZN4vllm4gptq33gemm_half_q_half_gptq_3bit_kernelILb1ELi4EEEvPK6__halfPKjS6_S4_PS2_iiiibPKi.numbered_sgpr, 30
	.set _ZN4vllm4gptq33gemm_half_q_half_gptq_3bit_kernelILb1ELi4EEEvPK6__halfPKjS6_S4_PS2_iiiibPKi.num_named_barrier, 0
	.set _ZN4vllm4gptq33gemm_half_q_half_gptq_3bit_kernelILb1ELi4EEEvPK6__halfPKjS6_S4_PS2_iiiibPKi.private_seg_size, 0
	.set _ZN4vllm4gptq33gemm_half_q_half_gptq_3bit_kernelILb1ELi4EEEvPK6__halfPKjS6_S4_PS2_iiiibPKi.uses_vcc, 1
	.set _ZN4vllm4gptq33gemm_half_q_half_gptq_3bit_kernelILb1ELi4EEEvPK6__halfPKjS6_S4_PS2_iiiibPKi.uses_flat_scratch, 0
	.set _ZN4vllm4gptq33gemm_half_q_half_gptq_3bit_kernelILb1ELi4EEEvPK6__halfPKjS6_S4_PS2_iiiibPKi.has_dyn_sized_stack, 0
	.set _ZN4vllm4gptq33gemm_half_q_half_gptq_3bit_kernelILb1ELi4EEEvPK6__halfPKjS6_S4_PS2_iiiibPKi.has_recursion, 0
	.set _ZN4vllm4gptq33gemm_half_q_half_gptq_3bit_kernelILb1ELi4EEEvPK6__halfPKjS6_S4_PS2_iiiibPKi.has_indirect_call, 0
	.section	.AMDGPU.csdata,"",@progbits
; Kernel info:
; codeLenInByte = 7288
; TotalNumSgprs: 32
; NumVgprs: 114
; ScratchSize: 0
; MemoryBound: 0
; FloatMode: 240
; IeeeMode: 1
; LDSByteSize: 1024 bytes/workgroup (compile time only)
; SGPRBlocks: 0
; VGPRBlocks: 14
; NumSGPRsForWavesPerEU: 32
; NumVGPRsForWavesPerEU: 114
; Occupancy: 8
; WaveLimiterHint : 0
; COMPUTE_PGM_RSRC2:SCRATCH_EN: 0
; COMPUTE_PGM_RSRC2:USER_SGPR: 6
; COMPUTE_PGM_RSRC2:TRAP_HANDLER: 0
; COMPUTE_PGM_RSRC2:TGID_X_EN: 1
; COMPUTE_PGM_RSRC2:TGID_Y_EN: 1
; COMPUTE_PGM_RSRC2:TGID_Z_EN: 1
; COMPUTE_PGM_RSRC2:TIDIG_COMP_CNT: 0
	.section	.text._ZN4vllm4gptq33gemm_half_q_half_gptq_4bit_kernelILb1ELi4EEEvPK6__halfPKjS6_S4_PS2_iiiibPKi,"axG",@progbits,_ZN4vllm4gptq33gemm_half_q_half_gptq_4bit_kernelILb1ELi4EEEvPK6__halfPKjS6_S4_PS2_iiiibPKi,comdat
	.protected	_ZN4vllm4gptq33gemm_half_q_half_gptq_4bit_kernelILb1ELi4EEEvPK6__halfPKjS6_S4_PS2_iiiibPKi ; -- Begin function _ZN4vllm4gptq33gemm_half_q_half_gptq_4bit_kernelILb1ELi4EEEvPK6__halfPKjS6_S4_PS2_iiiibPKi
	.globl	_ZN4vllm4gptq33gemm_half_q_half_gptq_4bit_kernelILb1ELi4EEEvPK6__halfPKjS6_S4_PS2_iiiibPKi
	.p2align	8
	.type	_ZN4vllm4gptq33gemm_half_q_half_gptq_4bit_kernelILb1ELi4EEEvPK6__halfPKjS6_S4_PS2_iiiibPKi,@function
_ZN4vllm4gptq33gemm_half_q_half_gptq_4bit_kernelILb1ELi4EEEvPK6__halfPKjS6_S4_PS2_iiiibPKi: ; @_ZN4vllm4gptq33gemm_half_q_half_gptq_4bit_kernelILb1ELi4EEEvPK6__halfPKjS6_S4_PS2_iiiibPKi
; %bb.0:
	s_load_dwordx4 s[0:3], s[4:5], 0x2c
	s_lshl_b32 s18, s8, 7
	s_lshl_b32 s7, s7, 2
	s_add_i32 s8, s18, 0x80
	s_mov_b32 s20, exec_lo
	v_cvt_f64_u32_e32 v[1:2], s8
	s_load_dwordx8 s[8:15], s[4:5], 0x8
	s_waitcnt lgkmcnt(0)
	v_cvt_f64_i32_e32 v[3:4], s1
	v_min_f64 v[1:2], v[1:2], v[3:4]
	v_cvt_i32_f64_e32 v2, v[1:2]
	v_add_nc_u32_e32 v1, s18, v0
	v_readfirstlane_b32 s19, v2
	v_cmpx_lt_u32_e64 v1, v2
	s_cbranch_execz .LBB29_10
; %bb.1:
	s_clause 0x1
	s_load_dwordx2 s[16:17], s[4:5], 0x40
	s_load_dwordx2 s[4:5], s[4:5], 0x0
	v_mov_b32_e32 v2, 0
	v_lshlrev_b64 v[3:4], 2, v[1:2]
	v_mov_b32_e32 v6, v2
	v_mov_b32_e32 v5, v1
	s_waitcnt lgkmcnt(0)
	v_add_co_u32 v3, vcc_lo, s16, v3
	v_add_co_ci_u32_e64 v4, null, s17, v4, vcc_lo
	s_cmp_lg_u64 s[16:17], 0
	s_cselect_b32 s21, -1, 0
	s_cmp_eq_u64 s[16:17], 0
	s_cbranch_scc1 .LBB29_3
; %bb.2:
	global_load_dword v5, v[3:4], off
	s_waitcnt vmcnt(0)
	v_ashrrev_i32_e32 v6, 31, v5
.LBB29_3:
	s_mul_i32 s16, s7, s1
	v_lshlrev_b64 v[5:6], 1, v[5:6]
	s_ashr_i32 s17, s16, 31
	v_cndmask_b32_e64 v8, 0, 1, s21
	s_lshl_b64 s[22:23], s[16:17], 1
	v_lshlrev_b32_e32 v7, 1, v0
	s_add_u32 s17, s4, s22
	s_addc_u32 s22, s5, s23
	v_add_co_u32 v5, vcc_lo, s17, v5
	v_add_co_ci_u32_e64 v6, null, s22, v6, vcc_lo
	s_andn2_b32 vcc_lo, exec_lo, s21
	global_load_ushort v9, v[5:6], off
	v_mov_b32_e32 v6, v2
	v_mov_b32_e32 v5, v1
	s_waitcnt vmcnt(0)
	ds_write_b16 v7, v9
	s_cbranch_vccnz .LBB29_5
; %bb.4:
	global_load_dword v5, v[3:4], off
	s_waitcnt vmcnt(0)
	v_ashrrev_i32_e32 v6, 31, v5
.LBB29_5:
	s_add_i32 s16, s16, s1
	v_lshlrev_b64 v[5:6], 1, v[5:6]
	s_ashr_i32 s17, s16, 31
	s_lshl_b64 s[22:23], s[16:17], 1
	s_add_u32 s17, s4, s22
	s_addc_u32 s21, s5, s23
	v_add_co_u32 v5, vcc_lo, s17, v5
	v_add_co_ci_u32_e64 v6, null, s21, v6, vcc_lo
	v_cmp_ne_u32_e32 vcc_lo, 1, v8
	global_load_ushort v9, v[5:6], off
	v_mov_b32_e32 v6, v2
	v_mov_b32_e32 v5, v1
	s_waitcnt vmcnt(0)
	ds_write_b16 v7, v9 offset:256
	s_cbranch_vccnz .LBB29_7
; %bb.6:
	global_load_dword v5, v[3:4], off
	s_waitcnt vmcnt(0)
	v_ashrrev_i32_e32 v6, 31, v5
.LBB29_7:
	s_add_i32 s16, s16, s1
	v_lshlrev_b64 v[5:6], 1, v[5:6]
	s_ashr_i32 s17, s16, 31
	s_lshl_b64 s[22:23], s[16:17], 1
	s_add_u32 s17, s4, s22
	s_addc_u32 s21, s5, s23
	v_add_co_u32 v5, vcc_lo, s17, v5
	v_add_co_ci_u32_e64 v6, null, s21, v6, vcc_lo
	v_cmp_ne_u32_e32 vcc_lo, 1, v8
	global_load_ushort v5, v[5:6], off
	s_waitcnt vmcnt(0)
	ds_write_b16 v7, v5 offset:512
	s_cbranch_vccnz .LBB29_9
; %bb.8:
	global_load_dword v1, v[3:4], off
	s_waitcnt vmcnt(0)
	v_ashrrev_i32_e32 v2, 31, v1
.LBB29_9:
	s_add_i32 s16, s16, s1
	v_lshlrev_b64 v[1:2], 1, v[1:2]
	s_ashr_i32 s17, s16, 31
	s_lshl_b64 s[16:17], s[16:17], 1
	s_add_u32 s4, s4, s16
	s_addc_u32 s5, s5, s17
	v_add_co_u32 v1, vcc_lo, s4, v1
	v_add_co_ci_u32_e64 v2, null, s5, v2, vcc_lo
	global_load_ushort v1, v[1:2], off
	s_waitcnt vmcnt(0)
	ds_write_b16 v7, v1 offset:768
.LBB29_10:
	s_or_b32 exec_lo, exec_lo, s20
	v_lshlrev_b32_e32 v1, 2, v0
	s_mov_b32 s4, exec_lo
	v_lshl_add_u32 v1, s6, 9, v1
	v_cmpx_gt_i32_e64 s0, v1
	s_cbranch_execz .LBB29_32
; %bb.11:
	s_abs_i32 s4, s2
	v_mov_b32_e32 v11, 0
	v_cvt_f32_u32_e32 v2, s4
	v_mov_b32_e32 v8, 0
	v_mov_b32_e32 v9, 0
	;; [unrolled: 1-line block ×4, first 2 shown]
	v_rcp_iflag_f32_e32 v2, v2
	v_mov_b32_e32 v13, 0
	v_mov_b32_e32 v14, 0
	;; [unrolled: 1-line block ×9, first 2 shown]
	v_mul_f32_e32 v2, 0x4f7ffffe, v2
	v_mov_b32_e32 v24, 0
	v_mov_b32_e32 v23, 0
	s_cmp_ge_i32 s18, s19
	s_waitcnt lgkmcnt(0)
	v_cvt_u32_f32_e32 v2, v2
	s_barrier
	buffer_gl0_inv
	v_readfirstlane_b32 s5, v2
	s_cbranch_scc1 .LBB29_16
; %bb.12:
	s_sub_i32 s6, 0, s4
	s_abs_i32 s16, s1
	s_mul_i32 s6, s6, s5
	s_ashr_i32 s1, s1, 31
	s_mul_hi_u32 s6, s5, s6
	s_ashr_i32 s2, s2, 31
	s_add_i32 s5, s5, s6
	s_xor_b32 s1, s1, s2
	s_mul_hi_u32 s5, s16, s5
	s_mov_b32 s20, 0xe400e400
	s_mul_i32 s6, s5, s4
	v_mov_b32_e32 v23, 0
	s_sub_i32 s2, s16, s6
	s_add_i32 s6, s5, 1
	s_sub_i32 s16, s2, s4
	s_cmp_ge_u32 s2, s4
	v_mov_b32_e32 v24, 0
	s_cselect_b32 s5, s6, s5
	s_cselect_b32 s2, s16, s2
	s_add_i32 s6, s5, 1
	s_cmp_ge_u32 s2, s4
	v_mov_b32_e32 v22, 0
	s_cselect_b32 s2, s6, s5
	v_mov_b32_e32 v21, 0
	s_xor_b32 s2, s2, s1
	v_mov_b32_e32 v19, 0
	s_sub_i32 s6, s2, s1
	s_bitcmp1_b32 s3, 0
	v_cvt_f32_u32_e32 v2, s6
	s_cselect_b32 s2, -1, 0
	s_sub_i32 s3, 0, s6
	s_xor_b32 s4, s2, -1
	v_mov_b32_e32 v18, 0
	v_rcp_iflag_f32_e32 v2, v2
	v_cndmask_b32_e64 v26, 0, 1, s4
	v_mov_b32_e32 v17, 0
	v_mov_b32_e32 v16, 0
	;; [unrolled: 1-line block ×8, first 2 shown]
	v_mul_f32_e32 v2, 0x4f7ffffe, v2
	v_mov_b32_e32 v8, 0
	s_mov_b32 s17, 0
	v_cvt_u32_f32_e32 v2, v2
	v_readfirstlane_b32 s1, v2
	v_ashrrev_i32_e32 v2, 31, v1
	s_mul_i32 s3, s3, s1
	v_lshrrev_b32_e32 v3, 29, v2
	s_mul_hi_u32 s3, s1, s3
	s_add_i32 s1, s1, s3
	v_add_nc_u32_e32 v3, v1, v3
	s_mul_hi_u32 s1, s18, s1
	s_mul_i32 s3, s1, s6
	s_sub_i32 s2, s18, s3
	s_add_i32 s3, s1, 1
	s_sub_i32 s5, s2, s6
	s_cmp_ge_u32 s2, s6
	v_ashrrev_i32_e32 v20, 3, v3
	s_cselect_b32 s1, s3, s1
	s_cselect_b32 s2, s5, s2
	s_add_i32 s3, s1, 1
	s_cmp_ge_u32 s2, s6
	s_cselect_b32 s16, s3, s1
	s_mul_i32 s1, s16, s0
	s_ashr_i32 s2, s1, 31
	v_add_nc_u32_e32 v5, s1, v1
	s_lshr_b32 s2, s2, 29
	s_add_i32 s2, s1, s2
	s_lshr_b32 s1, s18, 3
	s_ashr_i32 s2, s2, 3
	v_ashrrev_i32_e32 v6, 31, v5
	v_add_nc_u32_e32 v3, s2, v20
	s_mul_i32 s2, s0, s1
	s_ashr_i32 s3, s2, 31
	v_lshlrev_b64 v[5:6], 1, v[5:6]
	v_ashrrev_i32_e32 v4, 31, v3
	s_lshl_b64 s[2:3], s[2:3], 2
	s_add_u32 s2, s8, s2
	s_addc_u32 s3, s9, s3
	v_lshlrev_b64 v[3:4], 2, v[3:4]
	s_ashr_i32 s1, s0, 31
	s_add_i32 s8, s6, s18
	s_lshl_b64 s[4:5], s[0:1], 2
	s_mov_b32 s9, 0xf000f0
	v_add_co_u32 v3, vcc_lo, s10, v3
	v_add_co_ci_u32_e64 v4, null, s11, v4, vcc_lo
	v_add_co_u32 v5, vcc_lo, s12, v5
	v_add_co_ci_u32_e64 v6, null, s13, v6, vcc_lo
	global_load_dword v7, v[3:4], off
	global_load_dwordx2 v[4:5], v[5:6], off
	v_lshlrev_b32_e32 v6, 4, v0
	v_lshlrev_b64 v[2:3], 2, v[1:2]
	v_mov_b32_e32 v0, 0x10001
	v_and_b32_e32 v25, 16, v6
	v_add_co_u32 v2, vcc_lo, s2, v2
	v_add_co_ci_u32_e64 v3, null, s3, v3, vcc_lo
	s_lshl_b64 s[2:3], s[0:1], 4
	s_mov_b32 s1, 0xf000f
	s_waitcnt vmcnt(1)
	v_lshrrev_b32_e32 v6, v6, v7
	s_waitcnt vmcnt(0)
	v_cvt_f32_f16_e32 v27, v4
	v_cvt_f32_f16_sdwa v28, v4 dst_sel:DWORD dst_unused:UNUSED_PAD src0_sel:WORD_1
	v_bfe_u32 v4, v7, v25, 4
	v_cvt_f32_f16_e32 v29, v5
	v_bfe_u32 v7, v6, 12, 4
	v_bfe_u32 v11, v6, 8, 4
	v_bfe_u32 v6, v6, 4, 4
	v_add_nc_u32_e32 v4, v4, v26
	v_cvt_f32_f16_sdwa v30, v5 dst_sel:DWORD dst_unused:UNUSED_PAD src0_sel:WORD_1
	v_add_nc_u32_e32 v5, v7, v26
	v_add_nc_u32_e32 v7, v11, v26
	;; [unrolled: 1-line block ×3, first 2 shown]
	v_cvt_f32_ubyte0_e32 v11, v4
	v_mad_u32_u24 v31, 0x10001, v4, s20
	v_cvt_f32_ubyte0_e32 v4, v5
	v_cvt_f32_ubyte0_e32 v33, v7
	;; [unrolled: 1-line block ×3, first 2 shown]
	v_mad_u32_u24 v32, 0x10001, v5, s20
	v_cvt_f16_f32_e32 v5, v11
	v_cvt_f16_f32_e32 v4, v4
	;; [unrolled: 1-line block ×4, first 2 shown]
	v_mad_u32_u24 v33, 0x10001, v7, s20
	v_sub_f16_e32 v5, 0xd400, v5
	v_sub_f16_e32 v4, 0xd400, v4
	;; [unrolled: 1-line block ×4, first 2 shown]
	v_mad_u32_u24 v34, 0x10001, v6, s20
	v_mul_u32_u24_sdwa v35, v5, v0 dst_sel:DWORD dst_unused:UNUSED_PAD src0_sel:WORD_0 src1_sel:DWORD
	v_mul_u32_u24_sdwa v36, v4, v0 dst_sel:DWORD dst_unused:UNUSED_PAD src0_sel:WORD_0 src1_sel:DWORD
	;; [unrolled: 1-line block ×4, first 2 shown]
	v_mov_b32_e32 v11, 0
	s_branch .LBB29_14
.LBB29_13:                              ;   in Loop: Header=BB29_14 Depth=1
	global_load_dwordx4 v[4:7], v[2:3], off
	s_add_i32 s18, s18, 32
	s_waitcnt vmcnt(0)
	v_and_or_b32 v39, v4, s1, 0x64006400
	v_and_or_b32 v40, v4, s9, 0x64006400
	v_lshrrev_b32_e32 v4, 8, v4
	v_pk_add_f16 v42, v31, v39
	v_and_or_b32 v39, v5, s9, 0x64006400
	v_and_or_b32 v41, v4, s1, 0x64006400
	;; [unrolled: 1-line block ×3, first 2 shown]
	v_pk_fma_f16 v40, 0x2c00, v40, v35 op_sel_hi:[0,1,1]
	v_pk_fma_f16 v46, 0x2c00, v39, v38 op_sel_hi:[0,1,1]
	v_pk_add_f16 v41, v31, v41
	v_pk_fma_f16 v43, 0x2c00, v4, v35 op_sel_hi:[0,1,1]
	v_and_or_b32 v4, v5, s1, 0x64006400
	v_lshrrev_b32_e32 v5, 8, v5
	v_pk_add_f16 v45, v34, v4
	v_and_or_b32 v44, v5, s1, 0x64006400
	v_and_or_b32 v5, v5, s9, 0x64006400
	;; [unrolled: 1-line block ×3, first 2 shown]
	v_pk_add_f16 v44, v34, v44
	v_pk_fma_f16 v47, 0x2c00, v5, v38 op_sel_hi:[0,1,1]
	v_and_or_b32 v5, v6, s9, 0x64006400
	v_lshrrev_b32_e32 v6, 8, v6
	v_pk_add_f16 v48, v33, v4
	v_and_or_b32 v4, v7, s1, 0x64006400
	v_pk_fma_f16 v49, 0x2c00, v5, v37 op_sel_hi:[0,1,1]
	v_and_or_b32 v39, v6, s1, 0x64006400
	v_and_or_b32 v5, v7, s9, 0x64006400
	v_pk_add_f16 v52, v32, v4
	v_and_or_b32 v6, v6, s9, 0x64006400
	v_pk_add_f16 v50, v33, v39
	v_mov_b32_e32 v39, s17
	v_pk_fma_f16 v53, 0x2c00, v5, v36 op_sel_hi:[0,1,1]
	v_pk_fma_f16 v51, 0x2c00, v6, v37 op_sel_hi:[0,1,1]
	v_lshrrev_b32_e32 v6, 8, v7
	s_add_i32 s17, s17, 64
	ds_read2_b32 v[4:5], v39 offset1:1
	s_cmp_ge_i32 s18, s19
	v_and_or_b32 v7, v6, s1, 0x64006400
	v_and_or_b32 v6, v6, s9, 0x64006400
	v_pk_add_f16 v54, v32, v7
	v_pk_fma_f16 v55, 0x2c00, v6, v36 op_sel_hi:[0,1,1]
	s_waitcnt lgkmcnt(0)
	v_pk_fma_f16 v6, v42, v4, 0
	v_pk_fma_f16 v56, v40, v5, v6
	ds_read2_b32 v[6:7], v39 offset0:2 offset1:3
	s_waitcnt lgkmcnt(0)
	v_pk_fma_f16 v56, v41, v6, v56
	v_pk_fma_f16 v56, v43, v7, v56
	v_cvt_f32_f16_e32 v57, v56
	v_cvt_f32_f16_sdwa v56, v56 dst_sel:DWORD dst_unused:UNUSED_PAD src0_sel:WORD_1
	v_add_f32_e32 v56, v57, v56
	v_fmac_f32_e32 v23, v56, v27
	v_pk_fma_f16 v56, v45, v4, 0
	v_pk_fma_f16 v56, v46, v5, v56
	v_pk_fma_f16 v56, v44, v6, v56
	v_pk_fma_f16 v56, v47, v7, v56
	v_cvt_f32_f16_e32 v57, v56
	v_cvt_f32_f16_sdwa v56, v56 dst_sel:DWORD dst_unused:UNUSED_PAD src0_sel:WORD_1
	v_add_f32_e32 v56, v57, v56
	v_fmac_f32_e32 v24, v56, v28
	v_pk_fma_f16 v56, v48, v4, 0
	v_pk_fma_f16 v4, v52, v4, 0
	v_pk_fma_f16 v56, v49, v5, v56
	v_pk_fma_f16 v4, v53, v5, v4
	v_pk_fma_f16 v56, v50, v6, v56
	v_pk_fma_f16 v4, v54, v6, v4
	v_pk_fma_f16 v56, v51, v7, v56
	v_pk_fma_f16 v4, v55, v7, v4
	v_cvt_f32_f16_e32 v57, v56
	v_cvt_f32_f16_e32 v5, v4
	v_cvt_f32_f16_sdwa v4, v4 dst_sel:DWORD dst_unused:UNUSED_PAD src0_sel:WORD_1
	v_cvt_f32_f16_sdwa v56, v56 dst_sel:DWORD dst_unused:UNUSED_PAD src0_sel:WORD_1
	v_add_f32_e32 v4, v5, v4
	v_add_f32_e32 v56, v57, v56
	v_fmac_f32_e32 v21, v4, v30
	ds_read2_b32 v[4:5], v39 offset0:64 offset1:65
	v_fmac_f32_e32 v22, v56, v29
	s_waitcnt lgkmcnt(0)
	v_pk_fma_f16 v6, v42, v4, 0
	v_pk_fma_f16 v56, v40, v5, v6
	ds_read2_b32 v[6:7], v39 offset0:66 offset1:67
	s_waitcnt lgkmcnt(0)
	v_pk_fma_f16 v56, v41, v6, v56
	v_pk_fma_f16 v56, v43, v7, v56
	v_cvt_f32_f16_e32 v57, v56
	v_cvt_f32_f16_sdwa v56, v56 dst_sel:DWORD dst_unused:UNUSED_PAD src0_sel:WORD_1
	v_add_f32_e32 v56, v57, v56
	v_fmac_f32_e32 v19, v56, v27
	v_pk_fma_f16 v56, v45, v4, 0
	v_pk_fma_f16 v56, v46, v5, v56
	v_pk_fma_f16 v56, v44, v6, v56
	v_pk_fma_f16 v56, v47, v7, v56
	v_cvt_f32_f16_e32 v57, v56
	v_cvt_f32_f16_sdwa v56, v56 dst_sel:DWORD dst_unused:UNUSED_PAD src0_sel:WORD_1
	v_add_f32_e32 v56, v57, v56
	v_fmac_f32_e32 v18, v56, v28
	v_pk_fma_f16 v56, v48, v4, 0
	v_pk_fma_f16 v4, v52, v4, 0
	v_pk_fma_f16 v56, v49, v5, v56
	v_pk_fma_f16 v4, v53, v5, v4
	v_pk_fma_f16 v56, v50, v6, v56
	v_pk_fma_f16 v4, v54, v6, v4
	v_pk_fma_f16 v56, v51, v7, v56
	v_pk_fma_f16 v4, v55, v7, v4
	v_cvt_f32_f16_e32 v57, v56
	v_cvt_f32_f16_e32 v5, v4
	v_cvt_f32_f16_sdwa v4, v4 dst_sel:DWORD dst_unused:UNUSED_PAD src0_sel:WORD_1
	v_cvt_f32_f16_sdwa v56, v56 dst_sel:DWORD dst_unused:UNUSED_PAD src0_sel:WORD_1
	v_add_f32_e32 v4, v5, v4
	v_add_f32_e32 v56, v57, v56
	v_fmac_f32_e32 v16, v4, v30
	ds_read2_b32 v[4:5], v39 offset0:128 offset1:129
	v_fmac_f32_e32 v17, v56, v29
	;; [unrolled: 36-line block ×3, first 2 shown]
	s_waitcnt lgkmcnt(0)
	v_pk_fma_f16 v6, v42, v4, 0
	v_pk_fma_f16 v40, v40, v5, v6
	ds_read2_b32 v[6:7], v39 offset0:194 offset1:195
	s_waitcnt lgkmcnt(0)
	v_pk_fma_f16 v40, v41, v6, v40
	v_pk_fma_f16 v40, v43, v7, v40
	v_cvt_f32_f16_e32 v41, v40
	v_cvt_f32_f16_sdwa v40, v40 dst_sel:DWORD dst_unused:UNUSED_PAD src0_sel:WORD_1
	v_add_f32_e32 v40, v41, v40
	v_fmac_f32_e32 v10, v40, v27
	v_pk_fma_f16 v40, v45, v4, 0
	v_pk_fma_f16 v40, v46, v5, v40
	;; [unrolled: 1-line block ×4, first 2 shown]
	v_cvt_f32_f16_e32 v41, v40
	v_cvt_f32_f16_sdwa v40, v40 dst_sel:DWORD dst_unused:UNUSED_PAD src0_sel:WORD_1
	v_add_f32_e32 v40, v41, v40
	v_fmac_f32_e32 v9, v40, v28
	v_pk_fma_f16 v40, v48, v4, 0
	v_pk_fma_f16 v4, v52, v4, 0
	;; [unrolled: 1-line block ×8, first 2 shown]
	v_cvt_f32_f16_e32 v41, v40
	v_cvt_f32_f16_e32 v5, v4
	v_cvt_f32_f16_sdwa v4, v4 dst_sel:DWORD dst_unused:UNUSED_PAD src0_sel:WORD_1
	v_cvt_f32_f16_sdwa v40, v40 dst_sel:DWORD dst_unused:UNUSED_PAD src0_sel:WORD_1
	v_add_f32_e32 v4, v5, v4
	v_add_f32_e32 v40, v41, v40
	v_fmac_f32_e32 v11, v4, v30
	v_add_co_u32 v4, vcc_lo, v2, s4
	v_add_co_ci_u32_e64 v5, null, s5, v3, vcc_lo
	v_fmac_f32_e32 v8, v40, v29
	global_load_dwordx4 v[40:43], v[4:5], off
	v_add_co_u32 v4, vcc_lo, v4, s4
	v_add_co_ci_u32_e64 v5, null, s5, v5, vcc_lo
	s_waitcnt vmcnt(0)
	v_and_or_b32 v6, v40, s1, 0x64006400
	v_and_or_b32 v7, v40, s9, 0x64006400
	v_lshrrev_b32_e32 v40, 8, v40
	v_pk_add_f16 v45, v31, v6
	v_pk_fma_f16 v46, 0x2c00, v7, v35 op_sel_hi:[0,1,1]
	v_and_or_b32 v44, v40, s1, 0x64006400
	v_and_or_b32 v40, v40, s9, 0x64006400
	;; [unrolled: 1-line block ×4, first 2 shown]
	v_pk_add_f16 v44, v31, v44
	v_pk_fma_f16 v47, 0x2c00, v40, v35 op_sel_hi:[0,1,1]
	v_lshrrev_b32_e32 v40, 8, v41
	v_pk_add_f16 v48, v34, v6
	v_pk_fma_f16 v49, 0x2c00, v7, v38 op_sel_hi:[0,1,1]
	v_and_or_b32 v6, v42, s1, 0x64006400
	v_and_or_b32 v7, v42, s9, 0x64006400
	;; [unrolled: 1-line block ×4, first 2 shown]
	v_pk_fma_f16 v52, 0x2c00, v7, v37 op_sel_hi:[0,1,1]
	v_pk_add_f16 v50, v34, v41
	v_pk_fma_f16 v51, 0x2c00, v40, v38 op_sel_hi:[0,1,1]
	v_lshrrev_b32_e32 v40, 8, v42
	v_pk_add_f16 v42, v33, v6
	v_and_or_b32 v6, v43, s1, 0x64006400
	v_and_or_b32 v7, v43, s9, 0x64006400
	;; [unrolled: 1-line block ×4, first 2 shown]
	v_pk_fma_f16 v55, 0x2c00, v7, v36 op_sel_hi:[0,1,1]
	v_pk_add_f16 v53, v33, v41
	v_pk_fma_f16 v54, 0x2c00, v40, v37 op_sel_hi:[0,1,1]
	v_lshrrev_b32_e32 v40, 8, v43
	v_pk_add_f16 v43, v32, v6
	ds_read2_b32 v[6:7], v39 offset0:4 offset1:5
	v_and_or_b32 v41, v40, s1, 0x64006400
	v_and_or_b32 v40, v40, s9, 0x64006400
	v_pk_add_f16 v56, v32, v41
	v_pk_fma_f16 v57, 0x2c00, v40, v36 op_sel_hi:[0,1,1]
	s_waitcnt lgkmcnt(0)
	v_pk_fma_f16 v40, v45, v6, 0
	v_pk_fma_f16 v58, v46, v7, v40
	ds_read2_b32 v[40:41], v39 offset0:6 offset1:7
	s_waitcnt lgkmcnt(0)
	v_pk_fma_f16 v58, v44, v40, v58
	v_pk_fma_f16 v58, v47, v41, v58
	v_cvt_f32_f16_e32 v59, v58
	v_cvt_f32_f16_sdwa v58, v58 dst_sel:DWORD dst_unused:UNUSED_PAD src0_sel:WORD_1
	v_add_f32_e32 v58, v59, v58
	v_fmac_f32_e32 v23, v58, v27
	v_pk_fma_f16 v58, v48, v6, 0
	v_pk_fma_f16 v58, v49, v7, v58
	v_pk_fma_f16 v58, v50, v40, v58
	v_pk_fma_f16 v58, v51, v41, v58
	v_cvt_f32_f16_e32 v59, v58
	v_cvt_f32_f16_sdwa v58, v58 dst_sel:DWORD dst_unused:UNUSED_PAD src0_sel:WORD_1
	v_add_f32_e32 v58, v59, v58
	v_fmac_f32_e32 v24, v58, v28
	v_pk_fma_f16 v58, v42, v6, 0
	v_pk_fma_f16 v6, v43, v6, 0
	v_pk_fma_f16 v58, v52, v7, v58
	v_pk_fma_f16 v6, v55, v7, v6
	v_pk_fma_f16 v58, v53, v40, v58
	v_pk_fma_f16 v6, v56, v40, v6
	v_pk_fma_f16 v58, v54, v41, v58
	v_pk_fma_f16 v6, v57, v41, v6
	v_cvt_f32_f16_e32 v59, v58
	v_cvt_f32_f16_e32 v7, v6
	v_cvt_f32_f16_sdwa v6, v6 dst_sel:DWORD dst_unused:UNUSED_PAD src0_sel:WORD_1
	v_cvt_f32_f16_sdwa v58, v58 dst_sel:DWORD dst_unused:UNUSED_PAD src0_sel:WORD_1
	v_add_f32_e32 v6, v7, v6
	v_add_f32_e32 v58, v59, v58
	v_fmac_f32_e32 v21, v6, v30
	ds_read2_b32 v[6:7], v39 offset0:68 offset1:69
	v_fmac_f32_e32 v22, v58, v29
	s_waitcnt lgkmcnt(0)
	v_pk_fma_f16 v40, v45, v6, 0
	v_pk_fma_f16 v58, v46, v7, v40
	ds_read2_b32 v[40:41], v39 offset0:70 offset1:71
	s_waitcnt lgkmcnt(0)
	v_pk_fma_f16 v58, v44, v40, v58
	v_pk_fma_f16 v58, v47, v41, v58
	v_cvt_f32_f16_e32 v59, v58
	v_cvt_f32_f16_sdwa v58, v58 dst_sel:DWORD dst_unused:UNUSED_PAD src0_sel:WORD_1
	v_add_f32_e32 v58, v59, v58
	v_fmac_f32_e32 v19, v58, v27
	v_pk_fma_f16 v58, v48, v6, 0
	v_pk_fma_f16 v58, v49, v7, v58
	v_pk_fma_f16 v58, v50, v40, v58
	v_pk_fma_f16 v58, v51, v41, v58
	v_cvt_f32_f16_e32 v59, v58
	v_cvt_f32_f16_sdwa v58, v58 dst_sel:DWORD dst_unused:UNUSED_PAD src0_sel:WORD_1
	v_add_f32_e32 v58, v59, v58
	v_fmac_f32_e32 v18, v58, v28
	v_pk_fma_f16 v58, v42, v6, 0
	v_pk_fma_f16 v6, v43, v6, 0
	v_pk_fma_f16 v58, v52, v7, v58
	v_pk_fma_f16 v6, v55, v7, v6
	v_pk_fma_f16 v58, v53, v40, v58
	v_pk_fma_f16 v6, v56, v40, v6
	v_pk_fma_f16 v58, v54, v41, v58
	v_pk_fma_f16 v6, v57, v41, v6
	v_cvt_f32_f16_e32 v59, v58
	v_cvt_f32_f16_e32 v7, v6
	v_cvt_f32_f16_sdwa v6, v6 dst_sel:DWORD dst_unused:UNUSED_PAD src0_sel:WORD_1
	v_cvt_f32_f16_sdwa v58, v58 dst_sel:DWORD dst_unused:UNUSED_PAD src0_sel:WORD_1
	v_add_f32_e32 v6, v7, v6
	v_add_f32_e32 v58, v59, v58
	v_fmac_f32_e32 v16, v6, v30
	ds_read2_b32 v[6:7], v39 offset0:132 offset1:133
	v_fmac_f32_e32 v17, v58, v29
	;; [unrolled: 36-line block ×3, first 2 shown]
	s_waitcnt lgkmcnt(0)
	v_pk_fma_f16 v40, v45, v6, 0
	v_pk_fma_f16 v42, v42, v6, 0
	;; [unrolled: 1-line block ×3, first 2 shown]
	ds_read2_b32 v[40:41], v39 offset0:198 offset1:199
	v_pk_fma_f16 v42, v52, v7, v42
	s_waitcnt lgkmcnt(0)
	v_pk_fma_f16 v44, v44, v40, v45
	v_pk_fma_f16 v42, v53, v40, v42
	;; [unrolled: 1-line block ×4, first 2 shown]
	v_cvt_f32_f16_e32 v45, v44
	v_cvt_f32_f16_sdwa v44, v44 dst_sel:DWORD dst_unused:UNUSED_PAD src0_sel:WORD_1
	v_add_f32_e32 v44, v45, v44
	v_fmac_f32_e32 v10, v44, v27
	v_pk_fma_f16 v44, v48, v6, 0
	v_pk_fma_f16 v6, v43, v6, 0
	;; [unrolled: 1-line block ×8, first 2 shown]
	v_cvt_f32_f16_e32 v45, v44
	v_cvt_f32_f16_sdwa v44, v44 dst_sel:DWORD dst_unused:UNUSED_PAD src0_sel:WORD_1
	v_cvt_f32_f16_e32 v7, v6
	v_cvt_f32_f16_sdwa v6, v6 dst_sel:DWORD dst_unused:UNUSED_PAD src0_sel:WORD_1
	v_add_f32_e32 v44, v45, v44
	v_add_f32_e32 v6, v7, v6
	v_fmac_f32_e32 v9, v44, v28
	v_cvt_f32_f16_e32 v44, v42
	v_cvt_f32_f16_sdwa v42, v42 dst_sel:DWORD dst_unused:UNUSED_PAD src0_sel:WORD_1
	v_fmac_f32_e32 v11, v6, v30
	v_add_f32_e32 v42, v44, v42
	v_fmac_f32_e32 v8, v42, v29
	global_load_dwordx4 v[40:43], v[4:5], off
	v_add_co_u32 v4, vcc_lo, v4, s4
	v_add_co_ci_u32_e64 v5, null, s5, v5, vcc_lo
	v_add_co_u32 v2, vcc_lo, v2, s2
	v_add_co_ci_u32_e64 v3, null, s3, v3, vcc_lo
	s_waitcnt vmcnt(0)
	v_and_or_b32 v6, v40, s1, 0x64006400
	v_and_or_b32 v7, v40, s9, 0x64006400
	v_lshrrev_b32_e32 v40, 8, v40
	v_pk_add_f16 v45, v31, v6
	v_pk_fma_f16 v46, 0x2c00, v7, v35 op_sel_hi:[0,1,1]
	v_and_or_b32 v44, v40, s1, 0x64006400
	v_and_or_b32 v40, v40, s9, 0x64006400
	;; [unrolled: 1-line block ×4, first 2 shown]
	v_pk_add_f16 v44, v31, v44
	v_pk_fma_f16 v47, 0x2c00, v40, v35 op_sel_hi:[0,1,1]
	v_lshrrev_b32_e32 v40, 8, v41
	v_pk_add_f16 v48, v34, v6
	v_pk_fma_f16 v49, 0x2c00, v7, v38 op_sel_hi:[0,1,1]
	v_and_or_b32 v6, v42, s1, 0x64006400
	v_and_or_b32 v7, v42, s9, 0x64006400
	;; [unrolled: 1-line block ×4, first 2 shown]
	v_pk_fma_f16 v52, 0x2c00, v7, v37 op_sel_hi:[0,1,1]
	v_pk_add_f16 v50, v34, v41
	v_pk_fma_f16 v51, 0x2c00, v40, v38 op_sel_hi:[0,1,1]
	v_lshrrev_b32_e32 v40, 8, v42
	v_pk_add_f16 v42, v33, v6
	v_and_or_b32 v6, v43, s1, 0x64006400
	v_and_or_b32 v7, v43, s9, 0x64006400
	;; [unrolled: 1-line block ×4, first 2 shown]
	v_pk_fma_f16 v55, 0x2c00, v7, v36 op_sel_hi:[0,1,1]
	v_pk_add_f16 v53, v33, v41
	v_pk_fma_f16 v54, 0x2c00, v40, v37 op_sel_hi:[0,1,1]
	v_lshrrev_b32_e32 v40, 8, v43
	v_pk_add_f16 v43, v32, v6
	ds_read2_b32 v[6:7], v39 offset0:8 offset1:9
	v_and_or_b32 v41, v40, s1, 0x64006400
	v_and_or_b32 v40, v40, s9, 0x64006400
	v_pk_add_f16 v56, v32, v41
	v_pk_fma_f16 v57, 0x2c00, v40, v36 op_sel_hi:[0,1,1]
	s_waitcnt lgkmcnt(0)
	v_pk_fma_f16 v40, v45, v6, 0
	v_pk_fma_f16 v58, v46, v7, v40
	ds_read2_b32 v[40:41], v39 offset0:10 offset1:11
	s_waitcnt lgkmcnt(0)
	v_pk_fma_f16 v58, v44, v40, v58
	v_pk_fma_f16 v58, v47, v41, v58
	v_cvt_f32_f16_e32 v59, v58
	v_cvt_f32_f16_sdwa v58, v58 dst_sel:DWORD dst_unused:UNUSED_PAD src0_sel:WORD_1
	v_add_f32_e32 v58, v59, v58
	v_fmac_f32_e32 v23, v58, v27
	v_pk_fma_f16 v58, v48, v6, 0
	v_pk_fma_f16 v58, v49, v7, v58
	v_pk_fma_f16 v58, v50, v40, v58
	v_pk_fma_f16 v58, v51, v41, v58
	v_cvt_f32_f16_e32 v59, v58
	v_cvt_f32_f16_sdwa v58, v58 dst_sel:DWORD dst_unused:UNUSED_PAD src0_sel:WORD_1
	v_add_f32_e32 v58, v59, v58
	v_fmac_f32_e32 v24, v58, v28
	v_pk_fma_f16 v58, v42, v6, 0
	v_pk_fma_f16 v6, v43, v6, 0
	v_pk_fma_f16 v58, v52, v7, v58
	v_pk_fma_f16 v6, v55, v7, v6
	v_pk_fma_f16 v58, v53, v40, v58
	v_pk_fma_f16 v6, v56, v40, v6
	v_pk_fma_f16 v58, v54, v41, v58
	v_pk_fma_f16 v6, v57, v41, v6
	v_cvt_f32_f16_e32 v59, v58
	v_cvt_f32_f16_e32 v7, v6
	v_cvt_f32_f16_sdwa v6, v6 dst_sel:DWORD dst_unused:UNUSED_PAD src0_sel:WORD_1
	v_cvt_f32_f16_sdwa v58, v58 dst_sel:DWORD dst_unused:UNUSED_PAD src0_sel:WORD_1
	v_add_f32_e32 v6, v7, v6
	v_add_f32_e32 v58, v59, v58
	v_fmac_f32_e32 v21, v6, v30
	ds_read2_b32 v[6:7], v39 offset0:72 offset1:73
	v_fmac_f32_e32 v22, v58, v29
	s_waitcnt lgkmcnt(0)
	v_pk_fma_f16 v40, v45, v6, 0
	v_pk_fma_f16 v58, v46, v7, v40
	ds_read2_b32 v[40:41], v39 offset0:74 offset1:75
	s_waitcnt lgkmcnt(0)
	v_pk_fma_f16 v58, v44, v40, v58
	v_pk_fma_f16 v58, v47, v41, v58
	v_cvt_f32_f16_e32 v59, v58
	v_cvt_f32_f16_sdwa v58, v58 dst_sel:DWORD dst_unused:UNUSED_PAD src0_sel:WORD_1
	v_add_f32_e32 v58, v59, v58
	v_fmac_f32_e32 v19, v58, v27
	v_pk_fma_f16 v58, v48, v6, 0
	v_pk_fma_f16 v58, v49, v7, v58
	v_pk_fma_f16 v58, v50, v40, v58
	v_pk_fma_f16 v58, v51, v41, v58
	v_cvt_f32_f16_e32 v59, v58
	v_cvt_f32_f16_sdwa v58, v58 dst_sel:DWORD dst_unused:UNUSED_PAD src0_sel:WORD_1
	v_add_f32_e32 v58, v59, v58
	v_fmac_f32_e32 v18, v58, v28
	v_pk_fma_f16 v58, v42, v6, 0
	v_pk_fma_f16 v6, v43, v6, 0
	v_pk_fma_f16 v58, v52, v7, v58
	v_pk_fma_f16 v6, v55, v7, v6
	v_pk_fma_f16 v58, v53, v40, v58
	v_pk_fma_f16 v6, v56, v40, v6
	v_pk_fma_f16 v58, v54, v41, v58
	v_pk_fma_f16 v6, v57, v41, v6
	v_cvt_f32_f16_e32 v59, v58
	v_cvt_f32_f16_e32 v7, v6
	v_cvt_f32_f16_sdwa v6, v6 dst_sel:DWORD dst_unused:UNUSED_PAD src0_sel:WORD_1
	v_cvt_f32_f16_sdwa v58, v58 dst_sel:DWORD dst_unused:UNUSED_PAD src0_sel:WORD_1
	v_add_f32_e32 v6, v7, v6
	v_add_f32_e32 v58, v59, v58
	v_fmac_f32_e32 v16, v6, v30
	ds_read2_b32 v[6:7], v39 offset0:136 offset1:137
	v_fmac_f32_e32 v17, v58, v29
	s_waitcnt lgkmcnt(0)
	v_pk_fma_f16 v40, v45, v6, 0
	v_pk_fma_f16 v58, v46, v7, v40
	ds_read2_b32 v[40:41], v39 offset0:138 offset1:139
	s_waitcnt lgkmcnt(0)
	v_pk_fma_f16 v58, v44, v40, v58
	v_pk_fma_f16 v58, v47, v41, v58
	v_cvt_f32_f16_e32 v59, v58
	v_cvt_f32_f16_sdwa v58, v58 dst_sel:DWORD dst_unused:UNUSED_PAD src0_sel:WORD_1
	v_add_f32_e32 v58, v59, v58
	v_fmac_f32_e32 v15, v58, v27
	v_pk_fma_f16 v58, v48, v6, 0
	v_pk_fma_f16 v58, v49, v7, v58
	v_pk_fma_f16 v58, v50, v40, v58
	v_pk_fma_f16 v58, v51, v41, v58
	v_cvt_f32_f16_e32 v59, v58
	v_cvt_f32_f16_sdwa v58, v58 dst_sel:DWORD dst_unused:UNUSED_PAD src0_sel:WORD_1
	v_add_f32_e32 v58, v59, v58
	v_fmac_f32_e32 v14, v58, v28
	v_pk_fma_f16 v58, v42, v6, 0
	v_pk_fma_f16 v6, v43, v6, 0
	v_pk_fma_f16 v58, v52, v7, v58
	v_pk_fma_f16 v6, v55, v7, v6
	v_pk_fma_f16 v58, v53, v40, v58
	v_pk_fma_f16 v6, v56, v40, v6
	v_pk_fma_f16 v58, v54, v41, v58
	v_pk_fma_f16 v6, v57, v41, v6
	v_cvt_f32_f16_e32 v59, v58
	v_cvt_f32_f16_e32 v7, v6
	v_cvt_f32_f16_sdwa v6, v6 dst_sel:DWORD dst_unused:UNUSED_PAD src0_sel:WORD_1
	v_cvt_f32_f16_sdwa v58, v58 dst_sel:DWORD dst_unused:UNUSED_PAD src0_sel:WORD_1
	v_add_f32_e32 v6, v7, v6
	v_add_f32_e32 v58, v59, v58
	v_fmac_f32_e32 v12, v6, v30
	ds_read2_b32 v[6:7], v39 offset0:200 offset1:201
	v_fmac_f32_e32 v13, v58, v29
	s_waitcnt lgkmcnt(0)
	v_pk_fma_f16 v40, v45, v6, 0
	v_pk_fma_f16 v42, v42, v6, 0
	;; [unrolled: 1-line block ×3, first 2 shown]
	ds_read2_b32 v[40:41], v39 offset0:202 offset1:203
	v_pk_fma_f16 v42, v52, v7, v42
	s_waitcnt lgkmcnt(0)
	v_pk_fma_f16 v44, v44, v40, v45
	v_pk_fma_f16 v42, v53, v40, v42
	;; [unrolled: 1-line block ×4, first 2 shown]
	v_cvt_f32_f16_e32 v45, v44
	v_cvt_f32_f16_sdwa v44, v44 dst_sel:DWORD dst_unused:UNUSED_PAD src0_sel:WORD_1
	v_add_f32_e32 v44, v45, v44
	v_fmac_f32_e32 v10, v44, v27
	v_pk_fma_f16 v44, v48, v6, 0
	v_pk_fma_f16 v6, v43, v6, 0
	;; [unrolled: 1-line block ×3, first 2 shown]
	global_load_dwordx4 v[46:49], v[4:5], off
	v_pk_fma_f16 v6, v55, v7, v6
	v_pk_fma_f16 v44, v50, v40, v44
	;; [unrolled: 1-line block ×5, first 2 shown]
	v_cvt_f32_f16_e32 v45, v44
	v_cvt_f32_f16_sdwa v44, v44 dst_sel:DWORD dst_unused:UNUSED_PAD src0_sel:WORD_1
	v_cvt_f32_f16_e32 v7, v6
	v_cvt_f32_f16_sdwa v6, v6 dst_sel:DWORD dst_unused:UNUSED_PAD src0_sel:WORD_1
	v_add_f32_e32 v44, v45, v44
	v_add_f32_e32 v6, v7, v6
	v_fmac_f32_e32 v9, v44, v28
	v_cvt_f32_f16_e32 v44, v42
	v_fmac_f32_e32 v11, v6, v30
	v_cvt_f32_f16_sdwa v42, v42 dst_sel:DWORD dst_unused:UNUSED_PAD src0_sel:WORD_1
	v_add_f32_e32 v42, v44, v42
	v_fmac_f32_e32 v8, v42, v29
	s_waitcnt vmcnt(0)
	v_lshrrev_b32_e32 v6, 8, v46
	v_lshrrev_b32_e32 v40, 8, v47
	v_and_or_b32 v4, v46, s1, 0x64006400
	v_and_or_b32 v5, v46, s9, 0x64006400
	;; [unrolled: 1-line block ×6, first 2 shown]
	v_pk_add_f16 v4, v31, v4
	v_pk_add_f16 v52, v31, v7
	v_pk_fma_f16 v53, 0x2c00, v6, v35 op_sel_hi:[0,1,1]
	v_and_or_b32 v6, v47, s1, 0x64006400
	v_and_or_b32 v7, v47, s9, 0x64006400
	v_pk_fma_f16 v47, 0x2c00, v40, v38 op_sel_hi:[0,1,1]
	v_lshrrev_b32_e32 v40, 8, v48
	v_pk_add_f16 v46, v34, v41
	v_pk_add_f16 v44, v34, v6
	v_pk_fma_f16 v45, 0x2c00, v7, v38 op_sel_hi:[0,1,1]
	v_and_or_b32 v6, v48, s1, 0x64006400
	v_and_or_b32 v7, v48, s9, 0x64006400
	;; [unrolled: 1-line block ×4, first 2 shown]
	v_pk_fma_f16 v5, 0x2c00, v5, v35 op_sel_hi:[0,1,1]
	v_pk_add_f16 v40, v33, v6
	v_pk_fma_f16 v41, 0x2c00, v7, v37 op_sel_hi:[0,1,1]
	v_and_or_b32 v6, v49, s1, 0x64006400
	v_and_or_b32 v7, v49, s9, 0x64006400
	v_lshrrev_b32_e32 v48, 8, v49
	v_pk_add_f16 v42, v33, v42
	v_pk_fma_f16 v43, 0x2c00, v43, v37 op_sel_hi:[0,1,1]
	v_pk_add_f16 v51, v32, v6
	v_pk_fma_f16 v50, 0x2c00, v7, v36 op_sel_hi:[0,1,1]
	ds_read2_b32 v[6:7], v39 offset0:12 offset1:13
	v_and_or_b32 v49, v48, s1, 0x64006400
	v_and_or_b32 v48, v48, s9, 0x64006400
	v_pk_add_f16 v49, v32, v49
	v_pk_fma_f16 v48, 0x2c00, v48, v36 op_sel_hi:[0,1,1]
	s_waitcnt lgkmcnt(0)
	v_pk_fma_f16 v54, v4, v6, 0
	v_pk_fma_f16 v56, v5, v7, v54
	ds_read2_b32 v[54:55], v39 offset0:14 offset1:15
	s_waitcnt lgkmcnt(0)
	v_pk_fma_f16 v56, v52, v54, v56
	v_pk_fma_f16 v56, v53, v55, v56
	v_cvt_f32_f16_e32 v57, v56
	v_cvt_f32_f16_sdwa v56, v56 dst_sel:DWORD dst_unused:UNUSED_PAD src0_sel:WORD_1
	v_add_f32_e32 v56, v57, v56
	v_fmac_f32_e32 v23, v56, v27
	v_pk_fma_f16 v56, v44, v6, 0
	v_pk_fma_f16 v56, v45, v7, v56
	v_pk_fma_f16 v56, v46, v54, v56
	v_pk_fma_f16 v56, v47, v55, v56
	v_cvt_f32_f16_e32 v57, v56
	v_cvt_f32_f16_sdwa v56, v56 dst_sel:DWORD dst_unused:UNUSED_PAD src0_sel:WORD_1
	v_add_f32_e32 v56, v57, v56
	v_fmac_f32_e32 v24, v56, v28
	v_pk_fma_f16 v56, v40, v6, 0
	v_pk_fma_f16 v6, v51, v6, 0
	v_pk_fma_f16 v56, v41, v7, v56
	v_pk_fma_f16 v6, v50, v7, v6
	v_pk_fma_f16 v56, v42, v54, v56
	v_pk_fma_f16 v6, v49, v54, v6
	v_pk_fma_f16 v56, v43, v55, v56
	v_pk_fma_f16 v6, v48, v55, v6
	v_cvt_f32_f16_e32 v57, v56
	v_cvt_f32_f16_e32 v7, v6
	v_cvt_f32_f16_sdwa v6, v6 dst_sel:DWORD dst_unused:UNUSED_PAD src0_sel:WORD_1
	v_cvt_f32_f16_sdwa v56, v56 dst_sel:DWORD dst_unused:UNUSED_PAD src0_sel:WORD_1
	v_add_f32_e32 v6, v7, v6
	v_add_f32_e32 v56, v57, v56
	v_fmac_f32_e32 v21, v6, v30
	ds_read2_b32 v[6:7], v39 offset0:76 offset1:77
	v_fmac_f32_e32 v22, v56, v29
	s_waitcnt lgkmcnt(0)
	v_pk_fma_f16 v54, v4, v6, 0
	v_pk_fma_f16 v56, v5, v7, v54
	ds_read2_b32 v[54:55], v39 offset0:78 offset1:79
	s_waitcnt lgkmcnt(0)
	v_pk_fma_f16 v56, v52, v54, v56
	v_pk_fma_f16 v56, v53, v55, v56
	v_cvt_f32_f16_e32 v57, v56
	v_cvt_f32_f16_sdwa v56, v56 dst_sel:DWORD dst_unused:UNUSED_PAD src0_sel:WORD_1
	v_add_f32_e32 v56, v57, v56
	v_fmac_f32_e32 v19, v56, v27
	v_pk_fma_f16 v56, v44, v6, 0
	v_pk_fma_f16 v56, v45, v7, v56
	v_pk_fma_f16 v56, v46, v54, v56
	v_pk_fma_f16 v56, v47, v55, v56
	v_cvt_f32_f16_e32 v57, v56
	v_cvt_f32_f16_sdwa v56, v56 dst_sel:DWORD dst_unused:UNUSED_PAD src0_sel:WORD_1
	v_add_f32_e32 v56, v57, v56
	v_fmac_f32_e32 v18, v56, v28
	v_pk_fma_f16 v56, v40, v6, 0
	v_pk_fma_f16 v6, v51, v6, 0
	v_pk_fma_f16 v56, v41, v7, v56
	v_pk_fma_f16 v6, v50, v7, v6
	v_pk_fma_f16 v56, v42, v54, v56
	v_pk_fma_f16 v6, v49, v54, v6
	v_pk_fma_f16 v56, v43, v55, v56
	v_pk_fma_f16 v6, v48, v55, v6
	v_cvt_f32_f16_e32 v57, v56
	v_cvt_f32_f16_e32 v7, v6
	v_cvt_f32_f16_sdwa v6, v6 dst_sel:DWORD dst_unused:UNUSED_PAD src0_sel:WORD_1
	v_cvt_f32_f16_sdwa v56, v56 dst_sel:DWORD dst_unused:UNUSED_PAD src0_sel:WORD_1
	v_add_f32_e32 v6, v7, v6
	v_add_f32_e32 v56, v57, v56
	v_fmac_f32_e32 v16, v6, v30
	ds_read2_b32 v[6:7], v39 offset0:140 offset1:141
	v_fmac_f32_e32 v17, v56, v29
	;; [unrolled: 36-line block ×3, first 2 shown]
	s_waitcnt lgkmcnt(0)
	v_pk_fma_f16 v4, v4, v6, 0
	v_pk_fma_f16 v54, v5, v7, v4
	ds_read2_b32 v[4:5], v39 offset0:206 offset1:207
	s_waitcnt lgkmcnt(0)
	v_pk_fma_f16 v39, v52, v4, v54
	v_pk_fma_f16 v39, v53, v5, v39
	v_cvt_f32_f16_e32 v52, v39
	v_cvt_f32_f16_sdwa v39, v39 dst_sel:DWORD dst_unused:UNUSED_PAD src0_sel:WORD_1
	v_add_f32_e32 v39, v52, v39
	v_fmac_f32_e32 v10, v39, v27
	v_pk_fma_f16 v39, v44, v6, 0
	v_pk_fma_f16 v39, v45, v7, v39
	;; [unrolled: 1-line block ×4, first 2 shown]
	v_cvt_f32_f16_e32 v44, v39
	v_cvt_f32_f16_sdwa v39, v39 dst_sel:DWORD dst_unused:UNUSED_PAD src0_sel:WORD_1
	v_add_f32_e32 v39, v44, v39
	v_fmac_f32_e32 v9, v39, v28
	v_pk_fma_f16 v39, v40, v6, 0
	v_pk_fma_f16 v6, v51, v6, 0
	v_pk_fma_f16 v39, v41, v7, v39
	v_pk_fma_f16 v6, v50, v7, v6
	v_pk_fma_f16 v39, v42, v4, v39
	v_pk_fma_f16 v4, v49, v4, v6
	v_pk_fma_f16 v39, v43, v5, v39
	v_pk_fma_f16 v4, v48, v5, v4
	v_cvt_f32_f16_e32 v40, v39
	v_cvt_f32_f16_sdwa v39, v39 dst_sel:DWORD dst_unused:UNUSED_PAD src0_sel:WORD_1
	v_cvt_f32_f16_e32 v5, v4
	v_cvt_f32_f16_sdwa v4, v4 dst_sel:DWORD dst_unused:UNUSED_PAD src0_sel:WORD_1
	v_add_f32_e32 v39, v40, v39
	v_add_f32_e32 v4, v5, v4
	v_fmac_f32_e32 v8, v39, v29
	v_fmac_f32_e32 v11, v4, v30
	s_cbranch_scc1 .LBB29_16
.LBB29_14:                              ; =>This Inner Loop Header: Depth=1
	s_cmp_lg_u32 s18, s8
	s_cbranch_scc1 .LBB29_13
; %bb.15:                               ;   in Loop: Header=BB29_14 Depth=1
	s_add_i32 s16, s16, 1
	s_add_i32 s8, s8, s6
	s_mul_i32 s21, s16, s0
	s_ashr_i32 s22, s21, 31
	v_add_nc_u32_e32 v6, s21, v1
	s_lshr_b32 s22, s22, 29
	s_add_i32 s22, s21, s22
	v_ashrrev_i32_e32 v7, 31, v6
	s_ashr_i32 s22, s22, 3
	v_add_nc_u32_e32 v4, s22, v20
	v_lshlrev_b64 v[6:7], 1, v[6:7]
	v_ashrrev_i32_e32 v5, 31, v4
	v_lshlrev_b64 v[4:5], 2, v[4:5]
	v_add_co_u32 v4, vcc_lo, s10, v4
	v_add_co_ci_u32_e64 v5, null, s11, v5, vcc_lo
	v_add_co_u32 v6, vcc_lo, s12, v6
	v_add_co_ci_u32_e64 v7, null, s13, v7, vcc_lo
	global_load_dword v29, v[4:5], off
	global_load_dwordx2 v[4:5], v[6:7], off
	s_waitcnt vmcnt(1)
	v_lshrrev_b32_e32 v6, v25, v29
	s_waitcnt vmcnt(0)
	v_cvt_f32_f16_e32 v27, v4
	v_cvt_f32_f16_sdwa v28, v4 dst_sel:DWORD dst_unused:UNUSED_PAD src0_sel:WORD_1
	v_bfe_u32 v4, v29, v25, 4
	v_cvt_f32_f16_e32 v29, v5
	v_bfe_u32 v7, v6, 4, 4
	v_bfe_u32 v31, v6, 8, 4
	;; [unrolled: 1-line block ×3, first 2 shown]
	v_add_nc_u32_e32 v4, v4, v26
	v_cvt_f32_f16_sdwa v30, v5 dst_sel:DWORD dst_unused:UNUSED_PAD src0_sel:WORD_1
	v_add_nc_u32_e32 v5, v7, v26
	v_add_nc_u32_e32 v7, v31, v26
	;; [unrolled: 1-line block ×3, first 2 shown]
	v_cvt_f32_ubyte0_e32 v32, v4
	v_mad_u32_u24 v31, 0x10001, v4, s20
	v_cvt_f32_ubyte0_e32 v4, v5
	v_cvt_f32_ubyte0_e32 v33, v7
	;; [unrolled: 1-line block ×3, first 2 shown]
	v_cvt_f16_f32_e32 v32, v32
	v_mad_u32_u24 v34, 0x10001, v5, s20
	v_cvt_f16_f32_e32 v4, v4
	v_cvt_f16_f32_e32 v5, v33
	;; [unrolled: 1-line block ×3, first 2 shown]
	v_mad_u32_u24 v33, 0x10001, v7, s20
	v_sub_f16_e32 v7, 0xd400, v32
	v_sub_f16_e32 v4, 0xd400, v4
	v_sub_f16_e32 v5, 0xd400, v5
	v_sub_f16_e32 v36, 0xd400, v35
	v_mad_u32_u24 v32, 0x10001, v6, s20
	v_mul_u32_u24_sdwa v35, v7, v0 dst_sel:DWORD dst_unused:UNUSED_PAD src0_sel:WORD_0 src1_sel:DWORD
	v_mul_u32_u24_sdwa v38, v4, v0 dst_sel:DWORD dst_unused:UNUSED_PAD src0_sel:WORD_0 src1_sel:DWORD
	;; [unrolled: 1-line block ×4, first 2 shown]
	s_branch .LBB29_13
.LBB29_16:
	v_mad_u64_u32 v[0:1], null, s7, s0, v[1:2]
	v_cvt_f16_f32_e32 v3, v23
	v_cvt_f16_f32_e32 v5, v24
	s_mov_b32 s1, 0
	v_pack_b32_f16 v5, v3, v5
	v_ashrrev_i32_e32 v1, 31, v0
	v_lshlrev_b64 v[1:2], 1, v[0:1]
	v_add_co_u32 v1, vcc_lo, s14, v1
	v_add_co_ci_u32_e64 v2, null, s15, v2, vcc_lo
	global_load_dword v4, v[1:2], off
.LBB29_17:                              ; =>This Inner Loop Header: Depth=1
	s_waitcnt vmcnt(0)
	v_pk_add_f16 v3, v5, v4
	global_atomic_cmpswap v3, v[1:2], v[3:4], off glc
	s_waitcnt vmcnt(0)
	v_cmp_eq_u32_e32 vcc_lo, v4, v3
	v_mov_b32_e32 v4, v3
	s_or_b32 s1, vcc_lo, s1
	s_andn2_b32 exec_lo, exec_lo, s1
	s_cbranch_execnz .LBB29_17
; %bb.18:
	s_or_b32 exec_lo, exec_lo, s1
	global_load_dword v4, v[1:2], off offset:4
	v_cvt_f16_f32_e32 v3, v22
	v_cvt_f16_f32_e32 v5, v21
	s_mov_b32 s1, 0
	v_pack_b32_f16 v5, v3, v5
.LBB29_19:                              ; =>This Inner Loop Header: Depth=1
	s_waitcnt vmcnt(0)
	v_pk_add_f16 v3, v5, v4
	global_atomic_cmpswap v3, v[1:2], v[3:4], off offset:4 glc
	s_waitcnt vmcnt(0)
	v_cmp_eq_u32_e32 vcc_lo, v4, v3
	v_mov_b32_e32 v4, v3
	s_or_b32 s1, vcc_lo, s1
	s_andn2_b32 exec_lo, exec_lo, s1
	s_cbranch_execnz .LBB29_19
; %bb.20:
	s_or_b32 exec_lo, exec_lo, s1
	v_add_nc_u32_e32 v0, s0, v0
	v_cvt_f16_f32_e32 v3, v19
	v_cvt_f16_f32_e32 v5, v18
	s_mov_b32 s1, 0
	v_ashrrev_i32_e32 v1, 31, v0
	v_pack_b32_f16 v5, v3, v5
	v_lshlrev_b64 v[1:2], 1, v[0:1]
	v_add_co_u32 v1, vcc_lo, s14, v1
	v_add_co_ci_u32_e64 v2, null, s15, v2, vcc_lo
	global_load_dword v4, v[1:2], off
.LBB29_21:                              ; =>This Inner Loop Header: Depth=1
	s_waitcnt vmcnt(0)
	v_pk_add_f16 v3, v5, v4
	global_atomic_cmpswap v3, v[1:2], v[3:4], off glc
	s_waitcnt vmcnt(0)
	v_cmp_eq_u32_e32 vcc_lo, v4, v3
	v_mov_b32_e32 v4, v3
	s_or_b32 s1, vcc_lo, s1
	s_andn2_b32 exec_lo, exec_lo, s1
	s_cbranch_execnz .LBB29_21
; %bb.22:
	s_or_b32 exec_lo, exec_lo, s1
	global_load_dword v4, v[1:2], off offset:4
	v_cvt_f16_f32_e32 v3, v17
	v_cvt_f16_f32_e32 v5, v16
	s_mov_b32 s1, 0
	v_pack_b32_f16 v5, v3, v5
.LBB29_23:                              ; =>This Inner Loop Header: Depth=1
	s_waitcnt vmcnt(0)
	v_pk_add_f16 v3, v5, v4
	global_atomic_cmpswap v3, v[1:2], v[3:4], off offset:4 glc
	s_waitcnt vmcnt(0)
	v_cmp_eq_u32_e32 vcc_lo, v4, v3
	v_mov_b32_e32 v4, v3
	s_or_b32 s1, vcc_lo, s1
	s_andn2_b32 exec_lo, exec_lo, s1
	s_cbranch_execnz .LBB29_23
; %bb.24:
	s_or_b32 exec_lo, exec_lo, s1
	v_add_nc_u32_e32 v0, s0, v0
	v_cvt_f16_f32_e32 v3, v15
	v_cvt_f16_f32_e32 v5, v14
	s_mov_b32 s1, 0
	v_ashrrev_i32_e32 v1, 31, v0
	v_pack_b32_f16 v5, v3, v5
	;; [unrolled: 39-line block ×3, first 2 shown]
	v_lshlrev_b64 v[0:1], 1, v[0:1]
	v_add_co_u32 v0, vcc_lo, s14, v0
	v_add_co_ci_u32_e64 v1, null, s15, v1, vcc_lo
	global_load_dword v3, v[0:1], off
.LBB29_29:                              ; =>This Inner Loop Header: Depth=1
	s_waitcnt vmcnt(0)
	v_pk_add_f16 v2, v4, v3
	global_atomic_cmpswap v2, v[0:1], v[2:3], off glc
	s_waitcnt vmcnt(0)
	v_cmp_eq_u32_e32 vcc_lo, v3, v2
	v_mov_b32_e32 v3, v2
	s_or_b32 s0, vcc_lo, s0
	s_andn2_b32 exec_lo, exec_lo, s0
	s_cbranch_execnz .LBB29_29
; %bb.30:
	s_or_b32 exec_lo, exec_lo, s0
	global_load_dword v3, v[0:1], off offset:4
	v_cvt_f16_f32_e32 v2, v8
	v_cvt_f16_f32_e32 v4, v11
	s_mov_b32 s0, 0
	v_pack_b32_f16 v4, v2, v4
.LBB29_31:                              ; =>This Inner Loop Header: Depth=1
	s_waitcnt vmcnt(0)
	v_pk_add_f16 v2, v4, v3
	global_atomic_cmpswap v2, v[0:1], v[2:3], off offset:4 glc
	s_waitcnt vmcnt(0)
	v_cmp_eq_u32_e32 vcc_lo, v3, v2
	v_mov_b32_e32 v3, v2
	s_or_b32 s0, vcc_lo, s0
	s_andn2_b32 exec_lo, exec_lo, s0
	s_cbranch_execnz .LBB29_31
.LBB29_32:
	s_endpgm
	.section	.rodata,"a",@progbits
	.p2align	6, 0x0
	.amdhsa_kernel _ZN4vllm4gptq33gemm_half_q_half_gptq_4bit_kernelILb1ELi4EEEvPK6__halfPKjS6_S4_PS2_iiiibPKi
		.amdhsa_group_segment_fixed_size 1024
		.amdhsa_private_segment_fixed_size 0
		.amdhsa_kernarg_size 72
		.amdhsa_user_sgpr_count 6
		.amdhsa_user_sgpr_private_segment_buffer 1
		.amdhsa_user_sgpr_dispatch_ptr 0
		.amdhsa_user_sgpr_queue_ptr 0
		.amdhsa_user_sgpr_kernarg_segment_ptr 1
		.amdhsa_user_sgpr_dispatch_id 0
		.amdhsa_user_sgpr_flat_scratch_init 0
		.amdhsa_user_sgpr_private_segment_size 0
		.amdhsa_wavefront_size32 1
		.amdhsa_uses_dynamic_stack 0
		.amdhsa_system_sgpr_private_segment_wavefront_offset 0
		.amdhsa_system_sgpr_workgroup_id_x 1
		.amdhsa_system_sgpr_workgroup_id_y 1
		.amdhsa_system_sgpr_workgroup_id_z 1
		.amdhsa_system_sgpr_workgroup_info 0
		.amdhsa_system_vgpr_workitem_id 0
		.amdhsa_next_free_vgpr 60
		.amdhsa_next_free_sgpr 24
		.amdhsa_reserve_vcc 1
		.amdhsa_reserve_flat_scratch 0
		.amdhsa_float_round_mode_32 0
		.amdhsa_float_round_mode_16_64 0
		.amdhsa_float_denorm_mode_32 3
		.amdhsa_float_denorm_mode_16_64 3
		.amdhsa_dx10_clamp 1
		.amdhsa_ieee_mode 1
		.amdhsa_fp16_overflow 0
		.amdhsa_workgroup_processor_mode 1
		.amdhsa_memory_ordered 1
		.amdhsa_forward_progress 1
		.amdhsa_shared_vgpr_count 0
		.amdhsa_exception_fp_ieee_invalid_op 0
		.amdhsa_exception_fp_denorm_src 0
		.amdhsa_exception_fp_ieee_div_zero 0
		.amdhsa_exception_fp_ieee_overflow 0
		.amdhsa_exception_fp_ieee_underflow 0
		.amdhsa_exception_fp_ieee_inexact 0
		.amdhsa_exception_int_div_zero 0
	.end_amdhsa_kernel
	.section	.text._ZN4vllm4gptq33gemm_half_q_half_gptq_4bit_kernelILb1ELi4EEEvPK6__halfPKjS6_S4_PS2_iiiibPKi,"axG",@progbits,_ZN4vllm4gptq33gemm_half_q_half_gptq_4bit_kernelILb1ELi4EEEvPK6__halfPKjS6_S4_PS2_iiiibPKi,comdat
.Lfunc_end29:
	.size	_ZN4vllm4gptq33gemm_half_q_half_gptq_4bit_kernelILb1ELi4EEEvPK6__halfPKjS6_S4_PS2_iiiibPKi, .Lfunc_end29-_ZN4vllm4gptq33gemm_half_q_half_gptq_4bit_kernelILb1ELi4EEEvPK6__halfPKjS6_S4_PS2_iiiibPKi
                                        ; -- End function
	.set _ZN4vllm4gptq33gemm_half_q_half_gptq_4bit_kernelILb1ELi4EEEvPK6__halfPKjS6_S4_PS2_iiiibPKi.num_vgpr, 60
	.set _ZN4vllm4gptq33gemm_half_q_half_gptq_4bit_kernelILb1ELi4EEEvPK6__halfPKjS6_S4_PS2_iiiibPKi.num_agpr, 0
	.set _ZN4vllm4gptq33gemm_half_q_half_gptq_4bit_kernelILb1ELi4EEEvPK6__halfPKjS6_S4_PS2_iiiibPKi.numbered_sgpr, 24
	.set _ZN4vllm4gptq33gemm_half_q_half_gptq_4bit_kernelILb1ELi4EEEvPK6__halfPKjS6_S4_PS2_iiiibPKi.num_named_barrier, 0
	.set _ZN4vllm4gptq33gemm_half_q_half_gptq_4bit_kernelILb1ELi4EEEvPK6__halfPKjS6_S4_PS2_iiiibPKi.private_seg_size, 0
	.set _ZN4vllm4gptq33gemm_half_q_half_gptq_4bit_kernelILb1ELi4EEEvPK6__halfPKjS6_S4_PS2_iiiibPKi.uses_vcc, 1
	.set _ZN4vllm4gptq33gemm_half_q_half_gptq_4bit_kernelILb1ELi4EEEvPK6__halfPKjS6_S4_PS2_iiiibPKi.uses_flat_scratch, 0
	.set _ZN4vllm4gptq33gemm_half_q_half_gptq_4bit_kernelILb1ELi4EEEvPK6__halfPKjS6_S4_PS2_iiiibPKi.has_dyn_sized_stack, 0
	.set _ZN4vllm4gptq33gemm_half_q_half_gptq_4bit_kernelILb1ELi4EEEvPK6__halfPKjS6_S4_PS2_iiiibPKi.has_recursion, 0
	.set _ZN4vllm4gptq33gemm_half_q_half_gptq_4bit_kernelILb1ELi4EEEvPK6__halfPKjS6_S4_PS2_iiiibPKi.has_indirect_call, 0
	.section	.AMDGPU.csdata,"",@progbits
; Kernel info:
; codeLenInByte = 7788
; TotalNumSgprs: 26
; NumVgprs: 60
; ScratchSize: 0
; MemoryBound: 0
; FloatMode: 240
; IeeeMode: 1
; LDSByteSize: 1024 bytes/workgroup (compile time only)
; SGPRBlocks: 0
; VGPRBlocks: 7
; NumSGPRsForWavesPerEU: 26
; NumVGPRsForWavesPerEU: 60
; Occupancy: 16
; WaveLimiterHint : 0
; COMPUTE_PGM_RSRC2:SCRATCH_EN: 0
; COMPUTE_PGM_RSRC2:USER_SGPR: 6
; COMPUTE_PGM_RSRC2:TRAP_HANDLER: 0
; COMPUTE_PGM_RSRC2:TGID_X_EN: 1
; COMPUTE_PGM_RSRC2:TGID_Y_EN: 1
; COMPUTE_PGM_RSRC2:TGID_Z_EN: 1
; COMPUTE_PGM_RSRC2:TIDIG_COMP_CNT: 0
	.section	.text._ZN4vllm4gptq33gemm_half_q_half_gptq_8bit_kernelILb1ELi4EEEvPK6__halfPKjS6_S4_PS2_iiiibPKi,"axG",@progbits,_ZN4vllm4gptq33gemm_half_q_half_gptq_8bit_kernelILb1ELi4EEEvPK6__halfPKjS6_S4_PS2_iiiibPKi,comdat
	.protected	_ZN4vllm4gptq33gemm_half_q_half_gptq_8bit_kernelILb1ELi4EEEvPK6__halfPKjS6_S4_PS2_iiiibPKi ; -- Begin function _ZN4vllm4gptq33gemm_half_q_half_gptq_8bit_kernelILb1ELi4EEEvPK6__halfPKjS6_S4_PS2_iiiibPKi
	.globl	_ZN4vllm4gptq33gemm_half_q_half_gptq_8bit_kernelILb1ELi4EEEvPK6__halfPKjS6_S4_PS2_iiiibPKi
	.p2align	8
	.type	_ZN4vllm4gptq33gemm_half_q_half_gptq_8bit_kernelILb1ELi4EEEvPK6__halfPKjS6_S4_PS2_iiiibPKi,@function
_ZN4vllm4gptq33gemm_half_q_half_gptq_8bit_kernelILb1ELi4EEEvPK6__halfPKjS6_S4_PS2_iiiibPKi: ; @_ZN4vllm4gptq33gemm_half_q_half_gptq_8bit_kernelILb1ELi4EEEvPK6__halfPKjS6_S4_PS2_iiiibPKi
; %bb.0:
	s_load_dwordx4 s[0:3], s[4:5], 0x2c
	s_lshl_b32 s18, s8, 7
	s_lshl_b32 s7, s7, 2
	s_add_i32 s8, s18, 0x80
	s_mov_b32 s20, exec_lo
	v_cvt_f64_u32_e32 v[1:2], s8
	s_load_dwordx8 s[8:15], s[4:5], 0x8
	s_waitcnt lgkmcnt(0)
	v_cvt_f64_i32_e32 v[3:4], s1
	v_min_f64 v[1:2], v[1:2], v[3:4]
	v_cvt_i32_f64_e32 v2, v[1:2]
	v_add_nc_u32_e32 v1, s18, v0
	v_readfirstlane_b32 s19, v2
	v_cmpx_lt_u32_e64 v1, v2
	s_cbranch_execz .LBB30_10
; %bb.1:
	s_clause 0x1
	s_load_dwordx2 s[16:17], s[4:5], 0x40
	s_load_dwordx2 s[4:5], s[4:5], 0x0
	v_mov_b32_e32 v2, 0
	v_lshlrev_b64 v[3:4], 2, v[1:2]
	v_mov_b32_e32 v6, v2
	v_mov_b32_e32 v5, v1
	s_waitcnt lgkmcnt(0)
	v_add_co_u32 v3, vcc_lo, s16, v3
	v_add_co_ci_u32_e64 v4, null, s17, v4, vcc_lo
	s_cmp_lg_u64 s[16:17], 0
	s_cselect_b32 s21, -1, 0
	s_cmp_eq_u64 s[16:17], 0
	s_cbranch_scc1 .LBB30_3
; %bb.2:
	global_load_dword v5, v[3:4], off
	s_waitcnt vmcnt(0)
	v_ashrrev_i32_e32 v6, 31, v5
.LBB30_3:
	s_mul_i32 s16, s7, s1
	v_lshlrev_b64 v[5:6], 1, v[5:6]
	s_ashr_i32 s17, s16, 31
	v_cndmask_b32_e64 v8, 0, 1, s21
	s_lshl_b64 s[22:23], s[16:17], 1
	v_lshlrev_b32_e32 v7, 1, v0
	s_add_u32 s17, s4, s22
	s_addc_u32 s22, s5, s23
	v_add_co_u32 v5, vcc_lo, s17, v5
	v_add_co_ci_u32_e64 v6, null, s22, v6, vcc_lo
	s_andn2_b32 vcc_lo, exec_lo, s21
	global_load_ushort v9, v[5:6], off
	v_mov_b32_e32 v6, v2
	v_mov_b32_e32 v5, v1
	s_waitcnt vmcnt(0)
	ds_write_b16 v7, v9
	s_cbranch_vccnz .LBB30_5
; %bb.4:
	global_load_dword v5, v[3:4], off
	s_waitcnt vmcnt(0)
	v_ashrrev_i32_e32 v6, 31, v5
.LBB30_5:
	s_add_i32 s16, s16, s1
	v_lshlrev_b64 v[5:6], 1, v[5:6]
	s_ashr_i32 s17, s16, 31
	s_lshl_b64 s[22:23], s[16:17], 1
	s_add_u32 s17, s4, s22
	s_addc_u32 s21, s5, s23
	v_add_co_u32 v5, vcc_lo, s17, v5
	v_add_co_ci_u32_e64 v6, null, s21, v6, vcc_lo
	v_cmp_ne_u32_e32 vcc_lo, 1, v8
	global_load_ushort v9, v[5:6], off
	v_mov_b32_e32 v6, v2
	v_mov_b32_e32 v5, v1
	s_waitcnt vmcnt(0)
	ds_write_b16 v7, v9 offset:256
	s_cbranch_vccnz .LBB30_7
; %bb.6:
	global_load_dword v5, v[3:4], off
	s_waitcnt vmcnt(0)
	v_ashrrev_i32_e32 v6, 31, v5
.LBB30_7:
	s_add_i32 s16, s16, s1
	v_lshlrev_b64 v[5:6], 1, v[5:6]
	s_ashr_i32 s17, s16, 31
	s_lshl_b64 s[22:23], s[16:17], 1
	s_add_u32 s17, s4, s22
	s_addc_u32 s21, s5, s23
	v_add_co_u32 v5, vcc_lo, s17, v5
	v_add_co_ci_u32_e64 v6, null, s21, v6, vcc_lo
	v_cmp_ne_u32_e32 vcc_lo, 1, v8
	global_load_ushort v5, v[5:6], off
	s_waitcnt vmcnt(0)
	ds_write_b16 v7, v5 offset:512
	s_cbranch_vccnz .LBB30_9
; %bb.8:
	global_load_dword v1, v[3:4], off
	s_waitcnt vmcnt(0)
	v_ashrrev_i32_e32 v2, 31, v1
.LBB30_9:
	s_add_i32 s16, s16, s1
	v_lshlrev_b64 v[1:2], 1, v[1:2]
	s_ashr_i32 s17, s16, 31
	s_lshl_b64 s[16:17], s[16:17], 1
	s_add_u32 s4, s4, s16
	s_addc_u32 s5, s5, s17
	v_add_co_u32 v1, vcc_lo, s4, v1
	v_add_co_ci_u32_e64 v2, null, s5, v2, vcc_lo
	global_load_ushort v1, v[1:2], off
	s_waitcnt vmcnt(0)
	ds_write_b16 v7, v1 offset:768
.LBB30_10:
	s_or_b32 exec_lo, exec_lo, s20
	v_lshlrev_b32_e32 v0, 2, v0
	s_mov_b32 s4, exec_lo
	v_lshl_add_u32 v20, s6, 9, v0
	v_cmpx_gt_i32_e64 s0, v20
	s_cbranch_execz .LBB30_32
; %bb.11:
	s_abs_i32 s4, s2
	v_mov_b32_e32 v18, 0
	v_cvt_f32_u32_e32 v0, s4
	v_mov_b32_e32 v26, 0
	v_mov_b32_e32 v19, 0
	;; [unrolled: 1-line block ×4, first 2 shown]
	v_rcp_iflag_f32_e32 v0, v0
	v_mov_b32_e32 v38, 0
	v_mov_b32_e32 v40, 0
	v_mov_b32_e32 v27, 0
	s_cmp_ge_i32 s18, s19
	s_mov_b32 s6, 0
	s_waitcnt lgkmcnt(0)
	s_barrier
	buffer_gl0_inv
	v_mul_f32_e32 v0, 0x4f7ffffe, v0
	v_cvt_u32_f32_e32 v0, v0
	v_readfirstlane_b32 s5, v0
	s_cbranch_scc1 .LBB30_16
; %bb.12:
	s_sub_i32 s16, 0, s4
	s_abs_i32 s17, s1
	s_mul_i32 s16, s16, s5
	s_ashr_i32 s1, s1, 31
	s_mul_hi_u32 s16, s5, s16
	s_ashr_i32 s2, s2, 31
	s_add_i32 s5, s5, s16
	s_xor_b32 s1, s1, s2
	s_mul_hi_u32 s5, s17, s5
	v_ashrrev_i32_e32 v28, 2, v20
	s_mul_i32 s16, s5, s4
	v_ashrrev_i32_e32 v21, 31, v20
	s_sub_i32 s2, s17, s16
	s_add_i32 s16, s5, 1
	s_sub_i32 s17, s2, s4
	s_cmp_ge_u32 s2, s4
	v_mov_b32_e32 v27, 0
	s_cselect_b32 s5, s16, s5
	s_cselect_b32 s2, s17, s2
	s_add_i32 s16, s5, 1
	s_cmp_ge_u32 s2, s4
	v_mov_b32_e32 v40, 0
	s_cselect_b32 s2, s16, s5
	v_mov_b32_e32 v38, 0
	s_xor_b32 s2, s2, s1
	v_mov_b32_e32 v39, 0
	s_sub_i32 s16, s2, s1
	s_bitcmp1_b32 s3, 0
	v_cvt_f32_u32_e32 v0, s16
	s_cselect_b32 s2, -1, 0
	s_sub_i32 s3, 0, s16
	s_xor_b32 s4, s2, -1
	v_mov_b32_e32 v41, 0
	v_rcp_iflag_f32_e32 v0, v0
	v_mov_b32_e32 v19, 0
	v_mov_b32_e32 v26, 0
	;; [unrolled: 1-line block ×3, first 2 shown]
	v_mul_f32_e32 v0, 0x4f7ffffe, v0
	v_cvt_u32_f32_e32 v0, v0
	v_readfirstlane_b32 s1, v0
	s_mul_i32 s3, s3, s1
	s_mul_hi_u32 s3, s1, s3
	s_add_i32 s1, s1, s3
	s_mul_hi_u32 s1, s18, s1
	s_mul_i32 s3, s1, s16
	s_sub_i32 s2, s18, s3
	s_add_i32 s3, s1, 1
	s_sub_i32 s5, s2, s16
	s_cmp_ge_u32 s2, s16
	s_cselect_b32 s1, s3, s1
	s_cselect_b32 s2, s5, s2
	s_add_i32 s3, s1, 1
	s_cmp_ge_u32 s2, s16
	s_cselect_b32 s17, s3, s1
	s_mul_i32 s1, s17, s0
	s_ashr_i32 s2, s1, 31
	v_add_nc_u32_e32 v2, s1, v20
	s_lshr_b32 s2, s2, 30
	s_add_i32 s2, s1, s2
	s_lshr_b32 s1, s18, 2
	s_ashr_i32 s2, s2, 2
	v_ashrrev_i32_e32 v3, 31, v2
	v_add_nc_u32_e32 v0, s2, v28
	s_mul_i32 s2, s0, s1
	s_ashr_i32 s3, s2, 31
	v_lshlrev_b64 v[2:3], 1, v[2:3]
	v_ashrrev_i32_e32 v1, 31, v0
	s_lshl_b64 s[2:3], s[2:3], 2
	s_add_u32 s2, s8, s2
	s_addc_u32 s3, s9, s3
	v_lshlrev_b64 v[0:1], 2, v[0:1]
	s_ashr_i32 s1, s0, 31
	s_add_i32 s8, s16, s18
	v_add_co_u32 v0, vcc_lo, s10, v0
	v_add_co_ci_u32_e64 v1, null, s11, v1, vcc_lo
	global_load_dword v4, v[0:1], off
	v_add_co_u32 v0, vcc_lo, s12, v2
	v_add_co_ci_u32_e64 v1, null, s13, v3, vcc_lo
	global_load_dwordx2 v[22:23], v[0:1], off
	v_lshlrev_b64 v[0:1], 2, v[20:21]
	v_cndmask_b32_e64 v21, 0, 1, s4
	s_lshl_b64 s[4:5], s[0:1], 2
	v_add_co_u32 v24, vcc_lo, s2, v0
	v_add_co_ci_u32_e64 v25, null, s3, v1, vcc_lo
	s_lshl_b64 s[2:3], s[0:1], 5
	s_waitcnt vmcnt(1)
	v_and_b32_e32 v29, 0xff, v4
	v_bfe_u32 v30, v4, 8, 8
	v_bfe_u32 v31, v4, 16, 8
	v_lshrrev_b32_e32 v32, 24, v4
	s_branch .LBB30_14
.LBB30_13:                              ;   in Loop: Header=BB30_14 Depth=1
	global_load_dwordx4 v[12:15], v[24:25], off
	v_add_co_u32 v16, vcc_lo, v24, s4
	v_add_co_ci_u32_e64 v17, null, s5, v25, vcc_lo
	v_mov_b32_e32 v33, s6
	v_add_nc_u32_e32 v37, v29, v21
	v_add_nc_u32_e32 v36, v30, v21
	global_load_dwordx4 v[8:11], v[16:17], off
	v_add_co_u32 v16, vcc_lo, v16, s4
	v_add_co_ci_u32_e64 v17, null, s5, v17, vcc_lo
	ds_read_b128 v[4:7], v33
	ds_read_b128 v[0:3], v33 offset:256
	v_add_nc_u32_e32 v35, v31, v21
	v_add_nc_u32_e32 v34, v32, v21
	global_load_dwordx4 v[85:88], v[16:17], off
	s_add_i32 s18, s18, 32
	s_add_i32 s6, s6, 64
	s_cmp_ge_i32 s18, s19
	ds_read_b128 v[89:92], v33 offset:768
	s_waitcnt vmcnt(2)
	v_sub_nc_u32_sdwa v42, v12, v37 dst_sel:DWORD dst_unused:UNUSED_PAD src0_sel:BYTE_0 src1_sel:DWORD
	v_sub_nc_u32_sdwa v45, v13, v36 dst_sel:DWORD dst_unused:UNUSED_PAD src0_sel:BYTE_0 src1_sel:DWORD
	;; [unrolled: 1-line block ×4, first 2 shown]
	v_sub_nc_u32_sdwa v43, v12, v37 dst_sel:DWORD dst_unused:UNUSED_PAD src0_sel:BYTE_1 src1_sel:DWORD
	v_sub_nc_u32_sdwa v44, v12, v37 dst_sel:DWORD dst_unused:UNUSED_PAD src0_sel:BYTE_2 src1_sel:DWORD
	v_sub_nc_u32_sdwa v12, v12, v37 dst_sel:DWORD dst_unused:UNUSED_PAD src0_sel:BYTE_3 src1_sel:DWORD
	v_sub_nc_u32_sdwa v46, v13, v36 dst_sel:DWORD dst_unused:UNUSED_PAD src0_sel:BYTE_1 src1_sel:DWORD
	v_sub_nc_u32_sdwa v47, v13, v36 dst_sel:DWORD dst_unused:UNUSED_PAD src0_sel:BYTE_2 src1_sel:DWORD
	v_sub_nc_u32_sdwa v13, v13, v36 dst_sel:DWORD dst_unused:UNUSED_PAD src0_sel:BYTE_3 src1_sel:DWORD
	v_sub_nc_u32_sdwa v49, v14, v35 dst_sel:DWORD dst_unused:UNUSED_PAD src0_sel:BYTE_1 src1_sel:DWORD
	v_sub_nc_u32_sdwa v52, v15, v34 dst_sel:DWORD dst_unused:UNUSED_PAD src0_sel:BYTE_1 src1_sel:DWORD
	v_cvt_f32_i32_e32 v42, v42
	v_cvt_f32_i32_e32 v45, v45
	;; [unrolled: 1-line block ×4, first 2 shown]
	v_sub_nc_u32_sdwa v50, v14, v35 dst_sel:DWORD dst_unused:UNUSED_PAD src0_sel:BYTE_2 src1_sel:DWORD
	v_sub_nc_u32_sdwa v53, v15, v34 dst_sel:DWORD dst_unused:UNUSED_PAD src0_sel:BYTE_2 src1_sel:DWORD
	v_cvt_f32_i32_e32 v43, v43
	v_cvt_f32_i32_e32 v12, v12
	;; [unrolled: 1-line block ×6, first 2 shown]
	s_waitcnt vmcnt(1)
	v_sub_nc_u32_sdwa v55, v8, v37 dst_sel:DWORD dst_unused:UNUSED_PAD src0_sel:BYTE_0 src1_sel:DWORD
	v_sub_nc_u32_sdwa v56, v8, v37 dst_sel:DWORD dst_unused:UNUSED_PAD src0_sel:BYTE_1 src1_sel:DWORD
	v_sub_nc_u32_sdwa v58, v8, v37 dst_sel:DWORD dst_unused:UNUSED_PAD src0_sel:BYTE_2 src1_sel:DWORD
	v_sub_nc_u32_sdwa v8, v8, v37 dst_sel:DWORD dst_unused:UNUSED_PAD src0_sel:BYTE_3 src1_sel:DWORD
	v_sub_nc_u32_sdwa v59, v9, v36 dst_sel:DWORD dst_unused:UNUSED_PAD src0_sel:BYTE_0 src1_sel:DWORD
	v_sub_nc_u32_sdwa v60, v9, v36 dst_sel:DWORD dst_unused:UNUSED_PAD src0_sel:BYTE_1 src1_sel:DWORD
	v_sub_nc_u32_sdwa v61, v9, v36 dst_sel:DWORD dst_unused:UNUSED_PAD src0_sel:BYTE_2 src1_sel:DWORD
	v_sub_nc_u32_sdwa v9, v9, v36 dst_sel:DWORD dst_unused:UNUSED_PAD src0_sel:BYTE_3 src1_sel:DWORD
	v_cvt_f16_f32_e32 v67, v42
	v_cvt_f16_f32_e32 v68, v45
	;; [unrolled: 1-line block ×4, first 2 shown]
	v_sub_nc_u32_sdwa v14, v14, v35 dst_sel:DWORD dst_unused:UNUSED_PAD src0_sel:BYTE_3 src1_sel:DWORD
	v_sub_nc_u32_sdwa v15, v15, v34 dst_sel:DWORD dst_unused:UNUSED_PAD src0_sel:BYTE_3 src1_sel:DWORD
	v_cvt_f32_i32_e32 v44, v44
	v_cvt_f32_i32_e32 v47, v47
	;; [unrolled: 1-line block ×4, first 2 shown]
	v_sub_nc_u32_sdwa v64, v10, v35 dst_sel:DWORD dst_unused:UNUSED_PAD src0_sel:BYTE_0 src1_sel:DWORD
	v_sub_nc_u32_sdwa v71, v10, v35 dst_sel:DWORD dst_unused:UNUSED_PAD src0_sel:BYTE_1 src1_sel:DWORD
	v_sub_nc_u32_sdwa v72, v10, v35 dst_sel:DWORD dst_unused:UNUSED_PAD src0_sel:BYTE_2 src1_sel:DWORD
	v_sub_nc_u32_sdwa v10, v10, v35 dst_sel:DWORD dst_unused:UNUSED_PAD src0_sel:BYTE_3 src1_sel:DWORD
	v_sub_nc_u32_sdwa v73, v11, v34 dst_sel:DWORD dst_unused:UNUSED_PAD src0_sel:BYTE_0 src1_sel:DWORD
	v_sub_nc_u32_sdwa v74, v11, v34 dst_sel:DWORD dst_unused:UNUSED_PAD src0_sel:BYTE_1 src1_sel:DWORD
	v_sub_nc_u32_sdwa v75, v11, v34 dst_sel:DWORD dst_unused:UNUSED_PAD src0_sel:BYTE_2 src1_sel:DWORD
	v_sub_nc_u32_sdwa v11, v11, v34 dst_sel:DWORD dst_unused:UNUSED_PAD src0_sel:BYTE_3 src1_sel:DWORD
	v_cvt_f16_f32_e32 v62, v43
	v_cvt_f16_f32_e32 v42, v12
	;; [unrolled: 1-line block ×6, first 2 shown]
	v_cvt_f32_i32_e32 v12, v55
	v_cvt_f32_i32_e32 v13, v56
	;; [unrolled: 1-line block ×4, first 2 shown]
	s_waitcnt lgkmcnt(2)
	v_fma_mix_f32 v77, v67, v4, 0 op_sel_hi:[1,1,0]
	v_fma_mix_f32 v78, v68, v4, 0 op_sel_hi:[1,1,0]
	;; [unrolled: 1-line block ×4, first 2 shown]
	v_cvt_f32_i32_e32 v14, v14
	v_cvt_f32_i32_e32 v15, v15
	v_cvt_f16_f32_e32 v46, v44
	v_cvt_f16_f32_e32 v47, v47
	;; [unrolled: 1-line block ×4, first 2 shown]
	v_cvt_f32_i32_e32 v51, v61
	v_cvt_f32_i32_e32 v54, v72
	;; [unrolled: 1-line block ×4, first 2 shown]
	v_cvt_f16_f32_e32 v72, v12
	v_cvt_f16_f32_e32 v61, v13
	;; [unrolled: 1-line block ×4, first 2 shown]
	v_fma_mix_f32 v8, v62, v4, v77 op_sel:[0,1,0] op_sel_hi:[1,1,0]
	v_fma_mix_f32 v9, v63, v4, v78 op_sel:[0,1,0] op_sel_hi:[1,1,0]
	;; [unrolled: 1-line block ×4, first 2 shown]
	v_cvt_f16_f32_e32 v44, v14
	v_cvt_f16_f32_e32 v45, v15
	v_cvt_f32_i32_e32 v14, v58
	v_cvt_f32_i32_e32 v15, v59
	;; [unrolled: 1-line block ×4, first 2 shown]
	v_fma_mix_f32 v8, v46, v5, v8 op_sel_hi:[1,1,0]
	v_fma_mix_f32 v9, v47, v5, v9 op_sel_hi:[1,1,0]
	;; [unrolled: 1-line block ×4, first 2 shown]
	v_cvt_f32_i32_e32 v48, v60
	v_cvt_f32_i32_e32 v53, v71
	v_cvt_f32_i32_e32 v59, v74
	v_cvt_f16_f32_e32 v73, v15
	v_cvt_f16_f32_e32 v74, v52
	;; [unrolled: 1-line block ×3, first 2 shown]
	v_fma_mix_f32 v8, v42, v5, v8 op_sel:[0,1,0] op_sel_hi:[1,1,0]
	v_fma_mix_f32 v9, v43, v5, v9 op_sel:[0,1,0] op_sel_hi:[1,1,0]
	;; [unrolled: 1-line block ×4, first 2 shown]
	v_cvt_f32_i32_e32 v75, v75
	v_cvt_f16_f32_e32 v64, v48
	v_cvt_f16_f32_e32 v71, v53
	;; [unrolled: 1-line block ×3, first 2 shown]
	v_fma_mix_f32 v8, v72, v6, v8 op_sel_hi:[1,1,0]
	v_fma_mix_f32 v9, v73, v6, v9 op_sel_hi:[1,1,0]
	;; [unrolled: 1-line block ×4, first 2 shown]
	v_cvt_f16_f32_e32 v49, v14
	v_cvt_f16_f32_e32 v56, v51
	;; [unrolled: 1-line block ×4, first 2 shown]
	v_fma_mix_f32 v8, v61, v6, v8 op_sel:[0,1,0] op_sel_hi:[1,1,0]
	v_fma_mix_f32 v9, v64, v6, v9 op_sel:[0,1,0] op_sel_hi:[1,1,0]
	;; [unrolled: 1-line block ×4, first 2 shown]
	v_cvt_f16_f32_e32 v4, v55
	v_cvt_f16_f32_e32 v14, v76
	v_fma_mix_f32 v6, v49, v7, v8 op_sel_hi:[1,1,0]
	v_fma_mix_f32 v8, v56, v7, v9 op_sel_hi:[1,1,0]
	;; [unrolled: 1-line block ×4, first 2 shown]
	s_waitcnt lgkmcnt(1)
	v_fma_mix_f32 v51, v67, v0, 0 op_sel_hi:[1,1,0]
	v_fma_mix_f32 v12, v10, v7, v6 op_sel:[0,1,0] op_sel_hi:[1,1,0]
	v_fma_mix_f32 v13, v11, v7, v8 op_sel:[0,1,0] op_sel_hi:[1,1,0]
	v_fma_mix_f32 v5, v4, v7, v9 op_sel:[0,1,0] op_sel_hi:[1,1,0]
	v_fma_mix_f32 v6, v14, v7, v48 op_sel:[0,1,0] op_sel_hi:[1,1,0]
	v_fma_mix_f32 v7, v68, v0, 0 op_sel_hi:[1,1,0]
	v_fma_mix_f32 v8, v69, v0, 0 op_sel_hi:[1,1,0]
	;; [unrolled: 1-line block ×3, first 2 shown]
	v_fma_mix_f32 v48, v62, v0, v51 op_sel:[0,1,0] op_sel_hi:[1,1,0]
	s_waitcnt vmcnt(0)
	v_sub_nc_u32_sdwa v83, v85, v37 dst_sel:DWORD dst_unused:UNUSED_PAD src0_sel:BYTE_0 src1_sel:DWORD
	v_fma_mix_f32 v7, v63, v0, v7 op_sel:[0,1,0] op_sel_hi:[1,1,0]
	v_fma_mix_f32 v8, v65, v0, v8 op_sel:[0,1,0] op_sel_hi:[1,1,0]
	;; [unrolled: 1-line block ×3, first 2 shown]
	v_fma_mix_f32 v9, v46, v1, v48 op_sel_hi:[1,1,0]
	v_sub_nc_u32_sdwa v84, v85, v37 dst_sel:DWORD dst_unused:UNUSED_PAD src0_sel:BYTE_1 src1_sel:DWORD
	v_fma_mix_f32 v7, v47, v1, v7 op_sel_hi:[1,1,0]
	v_fma_mix_f32 v8, v50, v1, v8 op_sel_hi:[1,1,0]
	;; [unrolled: 1-line block ×3, first 2 shown]
	v_fma_mix_f32 v9, v42, v1, v9 op_sel:[0,1,0] op_sel_hi:[1,1,0]
	v_sub_nc_u32_sdwa v82, v85, v37 dst_sel:DWORD dst_unused:UNUSED_PAD src0_sel:BYTE_2 src1_sel:DWORD
	v_fma_mix_f32 v7, v43, v1, v7 op_sel:[0,1,0] op_sel_hi:[1,1,0]
	v_fma_mix_f32 v8, v44, v1, v8 op_sel:[0,1,0] op_sel_hi:[1,1,0]
	;; [unrolled: 1-line block ×3, first 2 shown]
	v_sub_nc_u32_sdwa v81, v85, v37 dst_sel:DWORD dst_unused:UNUSED_PAD src0_sel:BYTE_3 src1_sel:DWORD
	v_sub_nc_u32_sdwa v78, v86, v36 dst_sel:DWORD dst_unused:UNUSED_PAD src0_sel:BYTE_0 src1_sel:DWORD
	v_sub_nc_u32_sdwa v79, v86, v36 dst_sel:DWORD dst_unused:UNUSED_PAD src0_sel:BYTE_1 src1_sel:DWORD
	v_sub_nc_u32_sdwa v76, v86, v36 dst_sel:DWORD dst_unused:UNUSED_PAD src0_sel:BYTE_2 src1_sel:DWORD
	v_sub_nc_u32_sdwa v75, v86, v36 dst_sel:DWORD dst_unused:UNUSED_PAD src0_sel:BYTE_3 src1_sel:DWORD
	v_sub_nc_u32_sdwa v58, v87, v35 dst_sel:DWORD dst_unused:UNUSED_PAD src0_sel:BYTE_0 src1_sel:DWORD
	v_sub_nc_u32_sdwa v59, v87, v35 dst_sel:DWORD dst_unused:UNUSED_PAD src0_sel:BYTE_1 src1_sel:DWORD
	v_sub_nc_u32_sdwa v51, v87, v35 dst_sel:DWORD dst_unused:UNUSED_PAD src0_sel:BYTE_2 src1_sel:DWORD
	;; [unrolled: 4-line block ×3, first 2 shown]
	v_sub_nc_u32_sdwa v52, v88, v34 dst_sel:DWORD dst_unused:UNUSED_PAD src0_sel:BYTE_3 src1_sel:DWORD
	ds_read_b128 v[85:88], v33 offset:512
	v_fma_mix_f32 v1, v72, v2, v9 op_sel_hi:[1,1,0]
	v_fma_mix_f32 v7, v73, v2, v7 op_sel_hi:[1,1,0]
	;; [unrolled: 1-line block ×4, first 2 shown]
	v_fma_mix_f32 v1, v61, v2, v1 op_sel:[0,1,0] op_sel_hi:[1,1,0]
	v_fma_mix_f32 v7, v64, v2, v7 op_sel:[0,1,0] op_sel_hi:[1,1,0]
	;; [unrolled: 1-line block ×4, first 2 shown]
	v_fma_mix_f32 v1, v49, v3, v1 op_sel_hi:[1,1,0]
	v_fma_mix_f32 v7, v56, v3, v7 op_sel_hi:[1,1,0]
	;; [unrolled: 1-line block ×4, first 2 shown]
	v_fma_mix_f32 v2, v10, v3, v1 op_sel:[0,1,0] op_sel_hi:[1,1,0]
	v_fma_mix_f32 v7, v11, v3, v7 op_sel:[0,1,0] op_sel_hi:[1,1,0]
	;; [unrolled: 1-line block ×4, first 2 shown]
	v_add_co_u32 v8, vcc_lo, v16, s4
	s_waitcnt lgkmcnt(0)
	v_fma_mix_f32 v3, v67, v85, 0 op_sel_hi:[1,1,0]
	v_fma_mix_f32 v16, v67, v89, 0 op_sel_hi:[1,1,0]
	v_add_co_ci_u32_e64 v9, null, s5, v17, vcc_lo
	v_fma_mix_f32 v17, v68, v85, 0 op_sel_hi:[1,1,0]
	v_fma_mix_f32 v3, v62, v85, v3 op_sel:[0,1,0] op_sel_hi:[1,1,0]
	v_fma_mix_f32 v16, v62, v89, v16 op_sel:[0,1,0] op_sel_hi:[1,1,0]
	v_fma_mix_f32 v62, v68, v89, 0 op_sel_hi:[1,1,0]
	v_fma_mix_f32 v67, v69, v89, 0 op_sel_hi:[1,1,0]
	v_fma_mix_f32 v17, v63, v85, v17 op_sel:[0,1,0] op_sel_hi:[1,1,0]
	v_fma_mix_f32 v68, v70, v89, 0 op_sel_hi:[1,1,0]
	v_fma_mix_f32 v3, v46, v86, v3 op_sel_hi:[1,1,0]
	;; [unrolled: 3-line block ×3, first 2 shown]
	v_fma_mix_f32 v17, v47, v86, v17 op_sel_hi:[1,1,0]
	v_fma_mix_f32 v3, v42, v86, v3 op_sel:[0,1,0] op_sel_hi:[1,1,0]
	v_fma_mix_f32 v46, v47, v90, v62 op_sel_hi:[1,1,0]
	v_fma_mix_f32 v63, v65, v85, v63 op_sel:[0,1,0] op_sel_hi:[1,1,0]
	v_fma_mix_f32 v65, v65, v89, v67 op_sel:[0,1,0] op_sel_hi:[1,1,0]
	v_fma_mix_f32 v67, v70, v85, 0 op_sel_hi:[1,1,0]
	v_fma_mix_f32 v16, v42, v90, v16 op_sel:[0,1,0] op_sel_hi:[1,1,0]
	v_fma_mix_f32 v17, v43, v86, v17 op_sel:[0,1,0] op_sel_hi:[1,1,0]
	v_fma_mix_f32 v47, v50, v86, v63 op_sel_hi:[1,1,0]
	v_fma_mix_f32 v50, v50, v90, v65 op_sel_hi:[1,1,0]
	v_fma_mix_f32 v67, v66, v85, v67 op_sel:[0,1,0] op_sel_hi:[1,1,0]
	v_fma_mix_f32 v66, v66, v89, v68 op_sel:[0,1,0] op_sel_hi:[1,1,0]
	;; [unrolled: 1-line block ×5, first 2 shown]
	v_fma_mix_f32 v62, v57, v86, v67 op_sel_hi:[1,1,0]
	v_fma_mix_f32 v57, v57, v90, v66 op_sel_hi:[1,1,0]
	v_fma_mix_f32 v3, v72, v87, v3 op_sel_hi:[1,1,0]
	v_fma_mix_f32 v16, v72, v91, v16 op_sel_hi:[1,1,0]
	v_fma_mix_f32 v42, v73, v91, v42 op_sel_hi:[1,1,0]
	v_fma_mix_f32 v46, v45, v86, v62 op_sel:[0,1,0] op_sel_hi:[1,1,0]
	v_fma_mix_f32 v43, v74, v87, v43 op_sel_hi:[1,1,0]
	v_fma_mix_f32 v45, v45, v90, v57 op_sel:[0,1,0] op_sel_hi:[1,1,0]
	v_fma_mix_f32 v17, v73, v87, v17 op_sel_hi:[1,1,0]
	v_fma_mix_f32 v44, v74, v91, v44 op_sel_hi:[1,1,0]
	;; [unrolled: 1-line block ×3, first 2 shown]
	v_fma_mix_f32 v3, v61, v87, v3 op_sel:[0,1,0] op_sel_hi:[1,1,0]
	v_fma_mix_f32 v16, v61, v91, v16 op_sel:[0,1,0] op_sel_hi:[1,1,0]
	v_fma_mix_f32 v42, v64, v91, v42 op_sel:[0,1,0] op_sel_hi:[1,1,0]
	v_fma_mix_f32 v43, v71, v87, v43 op_sel:[0,1,0] op_sel_hi:[1,1,0]
	v_fma_mix_f32 v46, v77, v87, v46 op_sel:[0,1,0] op_sel_hi:[1,1,0]
	v_fma_mix_f32 v45, v80, v91, v45 op_sel_hi:[1,1,0]
	v_fma_mix_f32 v17, v64, v87, v17 op_sel:[0,1,0] op_sel_hi:[1,1,0]
	v_fma_mix_f32 v44, v71, v91, v44 op_sel:[0,1,0] op_sel_hi:[1,1,0]
	v_fma_mix_f32 v3, v49, v88, v3 op_sel_hi:[1,1,0]
	v_fma_mix_f32 v16, v49, v92, v16 op_sel_hi:[1,1,0]
	;; [unrolled: 1-line block ×5, first 2 shown]
	v_fma_mix_f32 v47, v77, v91, v45 op_sel:[0,1,0] op_sel_hi:[1,1,0]
	v_fma_mix_f32 v17, v56, v88, v17 op_sel_hi:[1,1,0]
	v_fma_mix_f32 v50, v60, v92, v44 op_sel_hi:[1,1,0]
	v_fma_mix_f32 v56, v4, v88, v42 op_sel:[0,1,0] op_sel_hi:[1,1,0]
	v_fma_mix_f32 v57, v14, v88, v43 op_sel:[0,1,0] op_sel_hi:[1,1,0]
	global_load_dwordx4 v[42:45], v[8:9], off
	v_fma_mix_f32 v46, v10, v88, v3 op_sel:[0,1,0] op_sel_hi:[1,1,0]
	v_fma_mix_f32 v3, v15, v92, v47 op_sel_hi:[1,1,0]
	v_fma_mix_f32 v50, v4, v92, v50 op_sel:[0,1,0] op_sel_hi:[1,1,0]
	v_fma_mixlo_f16 v4, v13, v22, 0 op_sel:[0,1,0] op_sel_hi:[0,1,0]
	v_fma_mix_f32 v17, v11, v88, v17 op_sel:[0,1,0] op_sel_hi:[1,1,0]
	v_fma_mixlo_f16 v2, v2, v22, 0 op_sel_hi:[0,1,0]
	v_fma_mix_f32 v14, v14, v92, v3 op_sel:[0,1,0] op_sel_hi:[1,1,0]
	v_fma_mixlo_f16 v3, v12, v22, 0 op_sel_hi:[0,1,0]
	v_add_f16_sdwa v13, v18, v4 dst_sel:DWORD dst_unused:UNUSED_PAD src0_sel:WORD_1 src1_sel:DWORD
	v_fma_mixlo_f16 v4, v6, v23, 0 op_sel:[0,1,0] op_sel_hi:[0,1,0]
	v_fma_mixlo_f16 v6, v7, v22, 0 op_sel:[0,1,0] op_sel_hi:[0,1,0]
	ds_read_b128 v[85:88], v33 offset:16
	v_add_f16_e32 v12, v18, v3
	v_fma_mixlo_f16 v3, v5, v23, 0 op_sel_hi:[0,1,0]
	v_fma_mixlo_f16 v0, v0, v23, 0 op_sel_hi:[0,1,0]
	v_fma_mix_f32 v10, v10, v92, v16 op_sel:[0,1,0] op_sel_hi:[1,1,0]
	v_fma_mixlo_f16 v7, v46, v22, 0 op_sel_hi:[0,1,0]
	v_add_f16_sdwa v4, v26, v4 dst_sel:DWORD dst_unused:UNUSED_PAD src0_sel:WORD_1 src1_sel:DWORD
	v_add_f16_e32 v5, v26, v3
	v_add_f16_e32 v3, v19, v2
	v_add_f16_sdwa v2, v19, v6 dst_sel:DWORD dst_unused:UNUSED_PAD src0_sel:WORD_1 src1_sel:DWORD
	v_fma_mixlo_f16 v6, v1, v23, 0 op_sel:[0,1,0] op_sel_hi:[0,1,0]
	v_add_f16_e32 v1, v41, v0
	v_fma_mixlo_f16 v15, v17, v22, 0 op_sel:[0,1,0] op_sel_hi:[0,1,0]
	v_fma_mixlo_f16 v10, v10, v22, 0 op_sel_hi:[0,1,0]
	v_add_f16_e32 v26, v39, v7
	v_add_f16_sdwa v0, v41, v6 dst_sel:DWORD dst_unused:UNUSED_PAD src0_sel:WORD_1 src1_sel:DWORD
	v_cvt_f32_i32_e32 v6, v83
	v_cvt_f32_i32_e32 v7, v84
	v_add_f16_sdwa v15, v39, v15 dst_sel:DWORD dst_unused:UNUSED_PAD src0_sel:WORD_1 src1_sel:DWORD
	v_add_f16_e32 v39, v40, v10
	v_fma_mixlo_f16 v10, v50, v23, 0 op_sel_hi:[0,1,0]
	v_cvt_f16_f32_e32 v67, v6
	v_cvt_f32_i32_e32 v6, v82
	v_cvt_f16_f32_e32 v68, v7
	v_fma_mix_f32 v11, v11, v92, v49 op_sel:[0,1,0] op_sel_hi:[1,1,0]
	v_add_f16_e32 v41, v27, v10
	s_waitcnt lgkmcnt(0)
	v_fma_mix_f32 v7, v67, v85, 0 op_sel_hi:[1,1,0]
	v_cvt_f32_i32_e32 v10, v81
	v_cvt_f16_f32_e32 v64, v6
	v_fma_mixlo_f16 v19, v11, v22, 0 op_sel:[0,1,0] op_sel_hi:[0,1,0]
	v_fma_mixlo_f16 v14, v14, v23, 0 op_sel:[0,1,0] op_sel_hi:[0,1,0]
	v_fma_mix_f32 v6, v68, v85, v7 op_sel:[0,1,0] op_sel_hi:[1,1,0]
	v_cvt_f16_f32_e32 v60, v10
	v_fma_mixlo_f16 v17, v56, v23, 0 op_sel_hi:[0,1,0]
	v_add_f16_sdwa v40, v40, v19 dst_sel:DWORD dst_unused:UNUSED_PAD src0_sel:WORD_1 src1_sel:DWORD
	v_add_f16_sdwa v19, v27, v14 dst_sel:DWORD dst_unused:UNUSED_PAD src0_sel:WORD_1 src1_sel:DWORD
	v_fma_mix_f32 v6, v64, v86, v6 op_sel_hi:[1,1,0]
	v_fma_mixlo_f16 v18, v57, v23, 0 op_sel:[0,1,0] op_sel_hi:[0,1,0]
	v_add_f16_e32 v11, v38, v17
	v_cvt_f32_i32_e32 v14, v55
	v_add_co_u32 v8, vcc_lo, v8, s4
	v_fma_mix_f32 v6, v60, v86, v6 op_sel:[0,1,0] op_sel_hi:[1,1,0]
	v_add_f16_sdwa v38, v38, v18 dst_sel:DWORD dst_unused:UNUSED_PAD src0_sel:WORD_1 src1_sel:DWORD
	v_cvt_f16_f32_e32 v14, v14
	v_add_co_ci_u32_e64 v9, null, s5, v9, vcc_lo
	s_waitcnt vmcnt(0)
	v_sub_nc_u32_sdwa v47, v42, v37 dst_sel:DWORD dst_unused:UNUSED_PAD src0_sel:BYTE_0 src1_sel:DWORD
	v_sub_nc_u32_sdwa v16, v42, v37 dst_sel:DWORD dst_unused:UNUSED_PAD src0_sel:BYTE_1 src1_sel:DWORD
	v_sub_nc_u32_sdwa v49, v42, v37 dst_sel:DWORD dst_unused:UNUSED_PAD src0_sel:BYTE_2 src1_sel:DWORD
	v_sub_nc_u32_sdwa v42, v42, v37 dst_sel:DWORD dst_unused:UNUSED_PAD src0_sel:BYTE_3 src1_sel:DWORD
	v_sub_nc_u32_sdwa v74, v44, v35 dst_sel:DWORD dst_unused:UNUSED_PAD src0_sel:BYTE_0 src1_sel:DWORD
	v_cvt_f32_i32_e32 v7, v47
	v_cvt_f32_i32_e32 v10, v16
	v_sub_nc_u32_sdwa v77, v44, v35 dst_sel:DWORD dst_unused:UNUSED_PAD src0_sel:BYTE_1 src1_sel:DWORD
	v_sub_nc_u32_sdwa v80, v44, v35 dst_sel:DWORD dst_unused:UNUSED_PAD src0_sel:BYTE_2 src1_sel:DWORD
	v_sub_nc_u32_sdwa v89, v44, v35 dst_sel:DWORD dst_unused:UNUSED_PAD src0_sel:BYTE_3 src1_sel:DWORD
	v_cvt_f16_f32_e32 v27, v7
	v_cvt_f32_i32_e32 v7, v49
	v_cvt_f16_f32_e32 v44, v10
	v_sub_nc_u32_sdwa v61, v43, v36 dst_sel:DWORD dst_unused:UNUSED_PAD src0_sel:BYTE_0 src1_sel:DWORD
	v_sub_nc_u32_sdwa v62, v43, v36 dst_sel:DWORD dst_unused:UNUSED_PAD src0_sel:BYTE_1 src1_sel:DWORD
	v_fma_mix_f32 v6, v27, v87, v6 op_sel_hi:[1,1,0]
	v_sub_nc_u32_sdwa v66, v43, v36 dst_sel:DWORD dst_unused:UNUSED_PAD src0_sel:BYTE_2 src1_sel:DWORD
	v_sub_nc_u32_sdwa v71, v43, v36 dst_sel:DWORD dst_unused:UNUSED_PAD src0_sel:BYTE_3 src1_sel:DWORD
	v_cvt_f32_i32_e32 v10, v42
	v_cvt_f16_f32_e32 v43, v7
	v_fma_mix_f32 v6, v44, v87, v6 op_sel:[0,1,0] op_sel_hi:[1,1,0]
	v_cvt_f32_i32_e32 v7, v78
	v_sub_nc_u32_sdwa v90, v45, v34 dst_sel:DWORD dst_unused:UNUSED_PAD src0_sel:BYTE_0 src1_sel:DWORD
	v_cvt_f16_f32_e32 v42, v10
	v_cvt_f32_i32_e32 v10, v79
	v_fma_mix_f32 v6, v43, v88, v6 op_sel_hi:[1,1,0]
	v_cvt_f16_f32_e32 v69, v7
	v_cvt_f32_i32_e32 v7, v76
	v_sub_nc_u32_sdwa v91, v45, v34 dst_sel:DWORD dst_unused:UNUSED_PAD src0_sel:BYTE_1 src1_sel:DWORD
	v_cvt_f16_f32_e32 v70, v10
	v_fma_mix_f32 v6, v42, v88, v6 op_sel:[0,1,0] op_sel_hi:[1,1,0]
	v_cvt_f32_i32_e32 v10, v75
	v_cvt_f16_f32_e32 v65, v7
	v_cvt_f32_i32_e32 v7, v61
	v_sub_nc_u32_sdwa v92, v45, v34 dst_sel:DWORD dst_unused:UNUSED_PAD src0_sel:BYTE_2 src1_sel:DWORD
	v_fma_mixlo_f16 v6, v6, v22, 0 op_sel_hi:[0,1,0]
	v_cvt_f16_f32_e32 v63, v10
	v_cvt_f32_i32_e32 v10, v62
	v_sub_nc_u32_sdwa v93, v45, v34 dst_sel:DWORD dst_unused:UNUSED_PAD src0_sel:BYTE_3 src1_sel:DWORD
	v_add_f16_e32 v16, v12, v6
	v_fma_mix_f32 v6, v69, v85, 0 op_sel_hi:[1,1,0]
	v_cvt_f16_f32_e32 v12, v7
	v_cvt_f32_i32_e32 v7, v66
	v_cvt_f16_f32_e32 v47, v10
	v_cvt_f32_i32_e32 v10, v71
	v_fma_mix_f32 v6, v70, v85, v6 op_sel:[0,1,0] op_sel_hi:[1,1,0]
	v_cvt_f16_f32_e32 v46, v7
	v_cvt_f32_i32_e32 v7, v58
	v_cvt_f16_f32_e32 v45, v10
	v_fma_mix_f32 v6, v65, v86, v6 op_sel_hi:[1,1,0]
	v_cvt_f32_i32_e32 v10, v59
	v_cvt_f16_f32_e32 v73, v7
	v_cvt_f32_i32_e32 v7, v51
	v_fma_mix_f32 v6, v63, v86, v6 op_sel:[0,1,0] op_sel_hi:[1,1,0]
	v_cvt_f16_f32_e32 v72, v10
	v_cvt_f32_i32_e32 v10, v48
	v_cvt_f16_f32_e32 v71, v7
	v_fma_mix_f32 v6, v12, v87, v6 op_sel_hi:[1,1,0]
	v_cvt_f32_i32_e32 v7, v74
	v_fma_mix_f32 v6, v47, v87, v6 op_sel:[0,1,0] op_sel_hi:[1,1,0]
	v_cvt_f16_f32_e32 v51, v7
	v_cvt_f32_i32_e32 v7, v80
	v_fma_mix_f32 v6, v46, v88, v6 op_sel_hi:[1,1,0]
	v_cvt_f16_f32_e32 v49, v7
	v_cvt_f32_i32_e32 v7, v54
	v_fma_mix_f32 v6, v45, v88, v6 op_sel:[0,1,0] op_sel_hi:[1,1,0]
	v_fma_mixlo_f16 v6, v6, v22, 0 op_sel:[0,1,0] op_sel_hi:[0,1,0]
	v_add_f16_e32 v17, v13, v6
	v_fma_mix_f32 v6, v73, v85, 0 op_sel_hi:[1,1,0]
	v_cvt_f16_f32_e32 v13, v10
	v_cvt_f32_i32_e32 v10, v77
	ds_read_b128 v[74:77], v33 offset:272
	v_fma_mix_f32 v6, v72, v85, v6 op_sel:[0,1,0] op_sel_hi:[1,1,0]
	v_cvt_f16_f32_e32 v50, v10
	v_cvt_f32_i32_e32 v10, v89
	v_fma_mix_f32 v6, v71, v86, v6 op_sel_hi:[1,1,0]
	v_cvt_f16_f32_e32 v48, v10
	v_cvt_f16_f32_e32 v10, v7
	v_fma_mix_f32 v6, v13, v86, v6 op_sel:[0,1,0] op_sel_hi:[1,1,0]
	v_cvt_f32_i32_e32 v7, v53
	v_fma_mix_f32 v6, v51, v87, v6 op_sel_hi:[1,1,0]
	v_cvt_f16_f32_e32 v57, v7
	v_cvt_f32_i32_e32 v7, v90
	v_fma_mix_f32 v6, v50, v87, v6 op_sel:[0,1,0] op_sel_hi:[1,1,0]
	v_cvt_f16_f32_e32 v55, v7
	v_cvt_f32_i32_e32 v7, v92
	v_fma_mix_f32 v6, v49, v88, v6 op_sel_hi:[1,1,0]
	v_cvt_f16_f32_e32 v53, v7
	v_fma_mix_f32 v6, v48, v88, v6 op_sel:[0,1,0] op_sel_hi:[1,1,0]
	v_fma_mixlo_f16 v6, v6, v23, 0 op_sel_hi:[0,1,0]
	v_add_f16_e32 v18, v5, v6
	v_fma_mix_f32 v5, v10, v85, 0 op_sel_hi:[1,1,0]
	v_cvt_f32_i32_e32 v6, v52
	v_fma_mix_f32 v5, v14, v85, v5 op_sel:[0,1,0] op_sel_hi:[1,1,0]
	v_cvt_f16_f32_e32 v56, v6
	v_cvt_f32_i32_e32 v6, v91
	v_fma_mix_f32 v5, v57, v86, v5 op_sel_hi:[1,1,0]
	v_cvt_f16_f32_e32 v54, v6
	v_cvt_f32_i32_e32 v6, v93
	v_fma_mix_f32 v5, v56, v86, v5 op_sel:[0,1,0] op_sel_hi:[1,1,0]
	v_cvt_f16_f32_e32 v52, v6
	v_fma_mix_f32 v5, v55, v87, v5 op_sel_hi:[1,1,0]
	v_fma_mix_f32 v5, v54, v87, v5 op_sel:[0,1,0] op_sel_hi:[1,1,0]
	v_fma_mix_f32 v5, v53, v88, v5 op_sel_hi:[1,1,0]
	v_fma_mix_f32 v5, v52, v88, v5 op_sel:[0,1,0] op_sel_hi:[1,1,0]
	v_fma_mixlo_f16 v5, v5, v23, 0 op_sel:[0,1,0] op_sel_hi:[0,1,0]
	v_add_f16_e32 v58, v4, v5
	s_waitcnt lgkmcnt(0)
	v_fma_mix_f32 v4, v67, v74, 0 op_sel_hi:[1,1,0]
	v_fma_mix_f32 v4, v68, v74, v4 op_sel:[0,1,0] op_sel_hi:[1,1,0]
	v_fma_mix_f32 v4, v64, v75, v4 op_sel_hi:[1,1,0]
	v_fma_mix_f32 v4, v60, v75, v4 op_sel:[0,1,0] op_sel_hi:[1,1,0]
	v_fma_mix_f32 v4, v27, v76, v4 op_sel_hi:[1,1,0]
	v_fma_mix_f32 v4, v44, v76, v4 op_sel:[0,1,0] op_sel_hi:[1,1,0]
	v_fma_mix_f32 v4, v43, v77, v4 op_sel_hi:[1,1,0]
	v_fma_mix_f32 v4, v42, v77, v4 op_sel:[0,1,0] op_sel_hi:[1,1,0]
	v_fma_mixlo_f16 v4, v4, v22, 0 op_sel_hi:[0,1,0]
	v_add_f16_e32 v59, v3, v4
	v_fma_mix_f32 v3, v69, v74, 0 op_sel_hi:[1,1,0]
	ds_read_b128 v[4:7], v33 offset:528
	v_fma_mix_f32 v3, v70, v74, v3 op_sel:[0,1,0] op_sel_hi:[1,1,0]
	v_fma_mix_f32 v3, v65, v75, v3 op_sel_hi:[1,1,0]
	v_fma_mix_f32 v3, v63, v75, v3 op_sel:[0,1,0] op_sel_hi:[1,1,0]
	v_fma_mix_f32 v3, v12, v76, v3 op_sel_hi:[1,1,0]
	;; [unrolled: 2-line block ×3, first 2 shown]
	v_fma_mix_f32 v3, v45, v77, v3 op_sel:[0,1,0] op_sel_hi:[1,1,0]
	v_fma_mixlo_f16 v3, v3, v22, 0 op_sel:[0,1,0] op_sel_hi:[0,1,0]
	v_add_f16_e32 v61, v2, v3
	v_fma_mix_f32 v2, v73, v74, 0 op_sel_hi:[1,1,0]
	v_fma_mix_f32 v2, v72, v74, v2 op_sel:[0,1,0] op_sel_hi:[1,1,0]
	v_fma_mix_f32 v2, v71, v75, v2 op_sel_hi:[1,1,0]
	v_fma_mix_f32 v2, v13, v75, v2 op_sel:[0,1,0] op_sel_hi:[1,1,0]
	;; [unrolled: 2-line block ×4, first 2 shown]
	v_fma_mixlo_f16 v2, v2, v23, 0 op_sel_hi:[0,1,0]
	v_add_f16_e32 v62, v1, v2
	v_fma_mix_f32 v1, v10, v74, 0 op_sel_hi:[1,1,0]
	v_fma_mix_f32 v1, v14, v74, v1 op_sel:[0,1,0] op_sel_hi:[1,1,0]
	v_fma_mix_f32 v1, v57, v75, v1 op_sel_hi:[1,1,0]
	v_fma_mix_f32 v1, v56, v75, v1 op_sel:[0,1,0] op_sel_hi:[1,1,0]
	;; [unrolled: 2-line block ×4, first 2 shown]
	v_fma_mixlo_f16 v1, v1, v23, 0 op_sel:[0,1,0] op_sel_hi:[0,1,0]
	v_add_f16_e32 v66, v0, v1
	ds_read_b128 v[0:3], v33 offset:784
	s_waitcnt lgkmcnt(1)
	v_fma_mix_f32 v74, v67, v4, 0 op_sel_hi:[1,1,0]
	v_fma_mix_f32 v74, v68, v4, v74 op_sel:[0,1,0] op_sel_hi:[1,1,0]
	s_waitcnt lgkmcnt(0)
	v_fma_mix_f32 v67, v67, v0, 0 op_sel_hi:[1,1,0]
	v_fma_mix_f32 v68, v68, v0, v67 op_sel:[0,1,0] op_sel_hi:[1,1,0]
	v_fma_mix_f32 v67, v64, v5, v74 op_sel_hi:[1,1,0]
	v_fma_mix_f32 v67, v60, v5, v67 op_sel:[0,1,0] op_sel_hi:[1,1,0]
	;; [unrolled: 2-line block ×4, first 2 shown]
	v_fma_mixlo_f16 v67, v67, v22, 0 op_sel_hi:[0,1,0]
	v_add_f16_e32 v67, v26, v67
	v_fma_mix_f32 v26, v64, v1, v68 op_sel_hi:[1,1,0]
	v_fma_mix_f32 v64, v69, v4, 0 op_sel_hi:[1,1,0]
	v_fma_mix_f32 v64, v70, v4, v64 op_sel:[0,1,0] op_sel_hi:[1,1,0]
	v_fma_mix_f32 v64, v65, v5, v64 op_sel_hi:[1,1,0]
	v_fma_mix_f32 v64, v63, v5, v64 op_sel:[0,1,0] op_sel_hi:[1,1,0]
	v_fma_mix_f32 v64, v12, v6, v64 op_sel_hi:[1,1,0]
	v_fma_mix_f32 v64, v47, v6, v64 op_sel:[0,1,0] op_sel_hi:[1,1,0]
	v_fma_mix_f32 v64, v46, v7, v64 op_sel_hi:[1,1,0]
	v_fma_mix_f32 v64, v45, v7, v64 op_sel:[0,1,0] op_sel_hi:[1,1,0]
	v_fma_mixlo_f16 v64, v64, v22, 0 op_sel:[0,1,0] op_sel_hi:[0,1,0]
	v_add_f16_e32 v68, v15, v64
	v_fma_mix_f32 v15, v60, v1, v26 op_sel:[0,1,0] op_sel_hi:[1,1,0]
	v_fma_mix_f32 v60, v73, v4, 0 op_sel_hi:[1,1,0]
	v_fma_mix_f32 v26, v69, v0, 0 op_sel_hi:[1,1,0]
	;; [unrolled: 1-line block ×3, first 2 shown]
	v_fma_mix_f32 v60, v72, v4, v60 op_sel:[0,1,0] op_sel_hi:[1,1,0]
	v_fma_mix_f32 v26, v70, v0, v26 op_sel:[0,1,0] op_sel_hi:[1,1,0]
	;; [unrolled: 1-line block ×3, first 2 shown]
	v_fma_mix_f32 v60, v71, v5, v60 op_sel_hi:[1,1,0]
	v_fma_mix_f32 v26, v65, v1, v26 op_sel_hi:[1,1,0]
	;; [unrolled: 1-line block ×3, first 2 shown]
	v_fma_mix_f32 v60, v13, v5, v60 op_sel:[0,1,0] op_sel_hi:[1,1,0]
	v_fma_mix_f32 v60, v51, v6, v60 op_sel_hi:[1,1,0]
	v_fma_mix_f32 v60, v50, v6, v60 op_sel:[0,1,0] op_sel_hi:[1,1,0]
	v_fma_mix_f32 v60, v49, v7, v60 op_sel_hi:[1,1,0]
	v_fma_mix_f32 v60, v48, v7, v60 op_sel:[0,1,0] op_sel_hi:[1,1,0]
	v_fma_mixlo_f16 v60, v60, v23, 0 op_sel_hi:[0,1,0]
	v_add_f16_e32 v69, v11, v60
	v_fma_mix_f32 v60, v14, v4, v65 op_sel:[0,1,0] op_sel_hi:[1,1,0]
	v_fma_mix_f32 v4, v27, v2, v15 op_sel_hi:[1,1,0]
	v_fma_mix_f32 v15, v63, v1, v26 op_sel:[0,1,0] op_sel_hi:[1,1,0]
	v_add_co_u32 v26, vcc_lo, v8, s4
	v_fma_mix_f32 v63, v71, v1, v64 op_sel_hi:[1,1,0]
	v_fma_mix_f32 v64, v10, v0, 0 op_sel_hi:[1,1,0]
	v_add_co_ci_u32_e64 v27, null, s5, v9, vcc_lo
	global_load_dwordx4 v[8:11], v[8:9], off
	v_fma_mix_f32 v65, v12, v2, v15 op_sel_hi:[1,1,0]
	v_fma_mix_f32 v63, v13, v1, v63 op_sel:[0,1,0] op_sel_hi:[1,1,0]
	v_fma_mix_f32 v0, v14, v0, v64 op_sel:[0,1,0] op_sel_hi:[1,1,0]
	global_load_dwordx4 v[12:15], v[26:27], off
	v_fma_mix_f32 v60, v57, v5, v60 op_sel_hi:[1,1,0]
	v_fma_mix_f32 v4, v44, v2, v4 op_sel:[0,1,0] op_sel_hi:[1,1,0]
	v_fma_mix_f32 v51, v51, v2, v63 op_sel_hi:[1,1,0]
	v_fma_mix_f32 v0, v57, v1, v0 op_sel_hi:[1,1,0]
	v_fma_mix_f32 v5, v56, v5, v60 op_sel:[0,1,0] op_sel_hi:[1,1,0]
	v_fma_mix_f32 v4, v43, v3, v4 op_sel_hi:[1,1,0]
	v_fma_mix_f32 v44, v50, v2, v51 op_sel:[0,1,0] op_sel_hi:[1,1,0]
	v_fma_mix_f32 v0, v56, v1, v0 op_sel:[0,1,0] op_sel_hi:[1,1,0]
	v_fma_mix_f32 v5, v55, v6, v5 op_sel_hi:[1,1,0]
	v_fma_mix_f32 v4, v42, v3, v4 op_sel:[0,1,0] op_sel_hi:[1,1,0]
	v_fma_mix_f32 v0, v55, v2, v0 op_sel_hi:[1,1,0]
	v_fma_mix_f32 v5, v54, v6, v5 op_sel:[0,1,0] op_sel_hi:[1,1,0]
	v_fma_mix_f32 v6, v47, v2, v65 op_sel:[0,1,0] op_sel_hi:[1,1,0]
	;; [unrolled: 1-line block ×3, first 2 shown]
	v_fma_mixlo_f16 v2, v4, v22, 0 op_sel_hi:[0,1,0]
	v_fma_mix_f32 v1, v53, v7, v5 op_sel_hi:[1,1,0]
	v_fma_mix_f32 v5, v46, v3, v6 op_sel_hi:[1,1,0]
	;; [unrolled: 1-line block ×4, first 2 shown]
	v_fma_mix_f32 v1, v52, v7, v1 op_sel:[0,1,0] op_sel_hi:[1,1,0]
	v_fma_mix_f32 v5, v45, v3, v5 op_sel:[0,1,0] op_sel_hi:[1,1,0]
	;; [unrolled: 1-line block ×3, first 2 shown]
	v_add_f16_e32 v45, v39, v2
	v_fma_mixlo_f16 v1, v1, v23, 0 op_sel:[0,1,0] op_sel_hi:[0,1,0]
	v_fma_mixlo_f16 v4, v5, v22, 0 op_sel:[0,1,0] op_sel_hi:[0,1,0]
	v_fma_mixlo_f16 v5, v6, v23, 0 op_sel_hi:[0,1,0]
	v_add_f16_e32 v46, v38, v1
	v_add_f16_e32 v44, v40, v4
	v_fma_mix_f32 v4, v52, v3, v0 op_sel:[0,1,0] op_sel_hi:[1,1,0]
	ds_read_b128 v[0:3], v33 offset:32
	v_add_f16_e32 v43, v41, v5
	v_fma_mixlo_f16 v4, v4, v23, 0 op_sel:[0,1,0] op_sel_hi:[0,1,0]
	v_add_f16_e32 v60, v19, v4
	s_waitcnt vmcnt(1)
	v_sub_nc_u32_sdwa v5, v8, v37 dst_sel:DWORD dst_unused:UNUSED_PAD src0_sel:BYTE_0 src1_sel:DWORD
	v_sub_nc_u32_sdwa v6, v8, v37 dst_sel:DWORD dst_unused:UNUSED_PAD src0_sel:BYTE_1 src1_sel:DWORD
	v_sub_nc_u32_sdwa v7, v8, v37 dst_sel:DWORD dst_unused:UNUSED_PAD src0_sel:BYTE_2 src1_sel:DWORD
	v_sub_nc_u32_sdwa v8, v8, v37 dst_sel:DWORD dst_unused:UNUSED_PAD src0_sel:BYTE_3 src1_sel:DWORD
	s_waitcnt vmcnt(0)
	v_sub_nc_u32_sdwa v38, v12, v37 dst_sel:DWORD dst_unused:UNUSED_PAD src0_sel:BYTE_0 src1_sel:DWORD
	v_cvt_f32_i32_e32 v5, v5
	v_cvt_f32_i32_e32 v6, v6
	;; [unrolled: 1-line block ×4, first 2 shown]
	v_sub_nc_u32_sdwa v39, v12, v37 dst_sel:DWORD dst_unused:UNUSED_PAD src0_sel:BYTE_1 src1_sel:DWORD
	v_cvt_f16_f32_e32 v5, v5
	v_cvt_f16_f32_e32 v6, v6
	v_cvt_f16_f32_e32 v4, v4
	v_cvt_f32_i32_e32 v19, v38
	v_cvt_f16_f32_e32 v8, v8
	s_waitcnt lgkmcnt(0)
	v_fma_mix_f32 v7, v5, v0, 0 op_sel_hi:[1,1,0]
	v_sub_nc_u32_sdwa v40, v12, v37 dst_sel:DWORD dst_unused:UNUSED_PAD src0_sel:BYTE_2 src1_sel:DWORD
	v_sub_nc_u32_sdwa v12, v12, v37 dst_sel:DWORD dst_unused:UNUSED_PAD src0_sel:BYTE_3 src1_sel:DWORD
	v_cvt_f16_f32_e32 v77, v19
	v_cvt_f32_i32_e32 v19, v39
	v_fma_mix_f32 v7, v6, v0, v7 op_sel:[0,1,0] op_sel_hi:[1,1,0]
	v_cvt_f32_i32_e32 v38, v40
	v_cvt_f32_i32_e32 v12, v12
	v_sub_nc_u32_sdwa v41, v9, v36 dst_sel:DWORD dst_unused:UNUSED_PAD src0_sel:BYTE_0 src1_sel:DWORD
	v_cvt_f16_f32_e32 v78, v19
	v_fma_mix_f32 v7, v4, v1, v7 op_sel_hi:[1,1,0]
	v_cvt_f16_f32_e32 v48, v38
	v_cvt_f16_f32_e32 v47, v12
	v_sub_nc_u32_sdwa v42, v9, v36 dst_sel:DWORD dst_unused:UNUSED_PAD src0_sel:BYTE_1 src1_sel:DWORD
	v_cvt_f32_i32_e32 v12, v41
	v_fma_mix_f32 v7, v8, v1, v7 op_sel:[0,1,0] op_sel_hi:[1,1,0]
	v_sub_nc_u32_sdwa v49, v9, v36 dst_sel:DWORD dst_unused:UNUSED_PAD src0_sel:BYTE_2 src1_sel:DWORD
	v_sub_nc_u32_sdwa v9, v9, v36 dst_sel:DWORD dst_unused:UNUSED_PAD src0_sel:BYTE_3 src1_sel:DWORD
	v_cvt_f32_i32_e32 v19, v42
	v_cvt_f16_f32_e32 v42, v12
	v_fma_mix_f32 v7, v77, v2, v7 op_sel_hi:[1,1,0]
	v_cvt_f32_i32_e32 v12, v49
	v_sub_nc_u32_sdwa v50, v13, v36 dst_sel:DWORD dst_unused:UNUSED_PAD src0_sel:BYTE_0 src1_sel:DWORD
	v_cvt_f16_f32_e32 v79, v19
	v_cvt_f32_i32_e32 v9, v9
	v_fma_mix_f32 v7, v78, v2, v7 op_sel:[0,1,0] op_sel_hi:[1,1,0]
	v_cvt_f16_f32_e32 v80, v12
	v_sub_nc_u32_sdwa v51, v13, v36 dst_sel:DWORD dst_unused:UNUSED_PAD src0_sel:BYTE_1 src1_sel:DWORD
	v_cvt_f32_i32_e32 v12, v50
	v_cvt_f16_f32_e32 v81, v9
	v_fma_mix_f32 v7, v48, v3, v7 op_sel_hi:[1,1,0]
	v_sub_nc_u32_sdwa v52, v13, v36 dst_sel:DWORD dst_unused:UNUSED_PAD src0_sel:BYTE_2 src1_sel:DWORD
	v_cvt_f32_i32_e32 v9, v51
	v_cvt_f16_f32_e32 v82, v12
	v_sub_nc_u32_sdwa v13, v13, v36 dst_sel:DWORD dst_unused:UNUSED_PAD src0_sel:BYTE_3 src1_sel:DWORD
	v_fma_mix_f32 v7, v47, v3, v7 op_sel:[0,1,0] op_sel_hi:[1,1,0]
	v_cvt_f32_i32_e32 v12, v52
	v_cvt_f16_f32_e32 v51, v9
	v_sub_nc_u32_sdwa v53, v10, v35 dst_sel:DWORD dst_unused:UNUSED_PAD src0_sel:BYTE_0 src1_sel:DWORD
	v_cvt_f32_i32_e32 v9, v13
	v_fma_mixlo_f16 v7, v7, v22, 0 op_sel_hi:[0,1,0]
	v_cvt_f16_f32_e32 v50, v12
	v_sub_nc_u32_sdwa v54, v10, v35 dst_sel:DWORD dst_unused:UNUSED_PAD src0_sel:BYTE_1 src1_sel:DWORD
	v_sub_nc_u32_sdwa v55, v10, v35 dst_sel:DWORD dst_unused:UNUSED_PAD src0_sel:BYTE_2 src1_sel:DWORD
	v_cvt_f16_f32_e32 v49, v9
	v_add_f16_e32 v70, v16, v7
	v_fma_mix_f32 v7, v42, v0, 0 op_sel_hi:[1,1,0]
	v_cvt_f32_i32_e32 v9, v53
	v_cvt_f32_i32_e32 v12, v54
	v_sub_nc_u32_sdwa v10, v10, v35 dst_sel:DWORD dst_unused:UNUSED_PAD src0_sel:BYTE_3 src1_sel:DWORD
	v_sub_nc_u32_sdwa v56, v14, v35 dst_sel:DWORD dst_unused:UNUSED_PAD src0_sel:BYTE_0 src1_sel:DWORD
	v_fma_mix_f32 v7, v79, v0, v7 op_sel:[0,1,0] op_sel_hi:[1,1,0]
	v_cvt_f16_f32_e32 v9, v9
	v_cvt_f16_f32_e32 v83, v12
	v_cvt_f32_i32_e32 v12, v55
	v_cvt_f32_i32_e32 v10, v10
	v_fma_mix_f32 v7, v80, v1, v7 op_sel_hi:[1,1,0]
	v_sub_nc_u32_sdwa v57, v14, v35 dst_sel:DWORD dst_unused:UNUSED_PAD src0_sel:BYTE_1 src1_sel:DWORD
	v_sub_nc_u32_sdwa v63, v14, v35 dst_sel:DWORD dst_unused:UNUSED_PAD src0_sel:BYTE_2 src1_sel:DWORD
	v_cvt_f16_f32_e32 v84, v12
	v_cvt_f32_i32_e32 v12, v56
	v_fma_mix_f32 v7, v81, v1, v7 op_sel:[0,1,0] op_sel_hi:[1,1,0]
	v_cvt_f16_f32_e32 v85, v10
	v_cvt_f32_i32_e32 v10, v57
	v_sub_nc_u32_sdwa v14, v14, v35 dst_sel:DWORD dst_unused:UNUSED_PAD src0_sel:BYTE_3 src1_sel:DWORD
	v_cvt_f16_f32_e32 v86, v12
	v_fma_mix_f32 v7, v82, v2, v7 op_sel_hi:[1,1,0]
	v_cvt_f32_i32_e32 v12, v63
	v_cvt_f16_f32_e32 v54, v10
	v_cvt_f32_i32_e32 v10, v14
	v_sub_nc_u32_sdwa v64, v11, v34 dst_sel:DWORD dst_unused:UNUSED_PAD src0_sel:BYTE_0 src1_sel:DWORD
	v_fma_mix_f32 v7, v51, v2, v7 op_sel:[0,1,0] op_sel_hi:[1,1,0]
	v_cvt_f16_f32_e32 v53, v12
	v_sub_nc_u32_sdwa v65, v11, v34 dst_sel:DWORD dst_unused:UNUSED_PAD src0_sel:BYTE_1 src1_sel:DWORD
	v_cvt_f16_f32_e32 v52, v10
	v_cvt_f32_i32_e32 v10, v64
	v_fma_mix_f32 v7, v50, v3, v7 op_sel_hi:[1,1,0]
	v_sub_nc_u32_sdwa v72, v11, v34 dst_sel:DWORD dst_unused:UNUSED_PAD src0_sel:BYTE_2 src1_sel:DWORD
	v_cvt_f32_i32_e32 v12, v65
	v_sub_nc_u32_sdwa v11, v11, v34 dst_sel:DWORD dst_unused:UNUSED_PAD src0_sel:BYTE_3 src1_sel:DWORD
	v_cvt_f16_f32_e32 v87, v10
	v_fma_mix_f32 v7, v49, v3, v7 op_sel:[0,1,0] op_sel_hi:[1,1,0]
	v_cvt_f32_i32_e32 v10, v72
	v_cvt_f16_f32_e32 v88, v12
	v_sub_nc_u32_sdwa v73, v15, v34 dst_sel:DWORD dst_unused:UNUSED_PAD src0_sel:BYTE_0 src1_sel:DWORD
	v_sub_nc_u32_sdwa v75, v15, v34 dst_sel:DWORD dst_unused:UNUSED_PAD src0_sel:BYTE_1 src1_sel:DWORD
	v_fma_mixlo_f16 v7, v7, v22, 0 op_sel:[0,1,0] op_sel_hi:[0,1,0]
	v_cvt_f16_f32_e32 v74, v10
	v_cvt_f32_i32_e32 v10, v11
	v_sub_nc_u32_sdwa v76, v15, v34 dst_sel:DWORD dst_unused:UNUSED_PAD src0_sel:BYTE_2 src1_sel:DWORD
	v_sub_nc_u32_sdwa v15, v15, v34 dst_sel:DWORD dst_unused:UNUSED_PAD src0_sel:BYTE_3 src1_sel:DWORD
	v_add_f16_e32 v71, v17, v7
	v_fma_mix_f32 v7, v9, v0, 0 op_sel_hi:[1,1,0]
	v_fma_mix_f32 v7, v83, v0, v7 op_sel:[0,1,0] op_sel_hi:[1,1,0]
	v_fma_mix_f32 v7, v84, v1, v7 op_sel_hi:[1,1,0]
	v_fma_mix_f32 v7, v85, v1, v7 op_sel:[0,1,0] op_sel_hi:[1,1,0]
	;; [unrolled: 2-line block ×4, first 2 shown]
	v_fma_mixlo_f16 v7, v7, v23, 0 op_sel_hi:[0,1,0]
	v_add_f16_e32 v63, v18, v7
	v_fma_mix_f32 v7, v87, v0, 0 op_sel_hi:[1,1,0]
	ds_read_b128 v[16:19], v33 offset:544
	v_fma_mix_f32 v0, v88, v0, v7 op_sel:[0,1,0] op_sel_hi:[1,1,0]
	v_cvt_f32_i32_e32 v7, v73
	v_cvt_f16_f32_e32 v73, v10
	v_fma_mix_f32 v0, v74, v1, v0 op_sel_hi:[1,1,0]
	v_cvt_f16_f32_e32 v72, v7
	v_cvt_f32_i32_e32 v7, v75
	v_fma_mix_f32 v0, v73, v1, v0 op_sel:[0,1,0] op_sel_hi:[1,1,0]
	v_cvt_f32_i32_e32 v1, v76
	v_cvt_f16_f32_e32 v57, v7
	v_fma_mix_f32 v0, v72, v2, v0 op_sel_hi:[1,1,0]
	v_cvt_f16_f32_e32 v56, v1
	v_cvt_f32_i32_e32 v1, v15
	ds_read_b128 v[12:15], v33 offset:800
	v_fma_mix_f32 v0, v57, v2, v0 op_sel:[0,1,0] op_sel_hi:[1,1,0]
	v_cvt_f16_f32_e32 v55, v1
	v_fma_mix_f32 v0, v56, v3, v0 op_sel_hi:[1,1,0]
	v_fma_mix_f32 v7, v55, v3, v0 op_sel:[0,1,0] op_sel_hi:[1,1,0]
	ds_read_b128 v[0:3], v33 offset:288
	v_fma_mixlo_f16 v7, v7, v23, 0 op_sel:[0,1,0] op_sel_hi:[0,1,0]
	v_add_f16_e32 v64, v58, v7
	s_waitcnt lgkmcnt(0)
	v_fma_mix_f32 v7, v5, v0, 0 op_sel_hi:[1,1,0]
	v_fma_mix_f32 v7, v6, v0, v7 op_sel:[0,1,0] op_sel_hi:[1,1,0]
	v_fma_mix_f32 v7, v4, v1, v7 op_sel_hi:[1,1,0]
	v_fma_mix_f32 v7, v8, v1, v7 op_sel:[0,1,0] op_sel_hi:[1,1,0]
	;; [unrolled: 2-line block ×4, first 2 shown]
	v_fma_mixlo_f16 v7, v7, v22, 0 op_sel_hi:[0,1,0]
	v_add_f16_e32 v65, v59, v7
	v_fma_mix_f32 v7, v42, v0, 0 op_sel_hi:[1,1,0]
	v_fma_mix_f32 v7, v79, v0, v7 op_sel:[0,1,0] op_sel_hi:[1,1,0]
	v_fma_mix_f32 v7, v80, v1, v7 op_sel_hi:[1,1,0]
	v_fma_mix_f32 v7, v81, v1, v7 op_sel:[0,1,0] op_sel_hi:[1,1,0]
	;; [unrolled: 2-line block ×4, first 2 shown]
	v_fma_mixlo_f16 v7, v7, v22, 0 op_sel:[0,1,0] op_sel_hi:[0,1,0]
	v_add_f16_e32 v61, v61, v7
	v_fma_mix_f32 v7, v9, v0, 0 op_sel_hi:[1,1,0]
	v_fma_mix_f32 v7, v83, v0, v7 op_sel:[0,1,0] op_sel_hi:[1,1,0]
	v_fma_mix_f32 v7, v84, v1, v7 op_sel_hi:[1,1,0]
	v_fma_mix_f32 v7, v85, v1, v7 op_sel:[0,1,0] op_sel_hi:[1,1,0]
	;; [unrolled: 2-line block ×4, first 2 shown]
	v_fma_mixlo_f16 v7, v7, v23, 0 op_sel_hi:[0,1,0]
	v_add_f16_e32 v38, v62, v7
	v_fma_mix_f32 v7, v87, v0, 0 op_sel_hi:[1,1,0]
	v_fma_mix_f32 v0, v88, v0, v7 op_sel:[0,1,0] op_sel_hi:[1,1,0]
	v_fma_mix_f32 v0, v74, v1, v0 op_sel_hi:[1,1,0]
	v_fma_mix_f32 v0, v73, v1, v0 op_sel:[0,1,0] op_sel_hi:[1,1,0]
	v_fma_mix_f32 v1, v5, v12, 0 op_sel_hi:[1,1,0]
	v_fma_mix_f32 v0, v72, v2, v0 op_sel_hi:[1,1,0]
	v_fma_mix_f32 v1, v6, v12, v1 op_sel:[0,1,0] op_sel_hi:[1,1,0]
	v_fma_mix_f32 v0, v57, v2, v0 op_sel:[0,1,0] op_sel_hi:[1,1,0]
	v_fma_mix_f32 v2, v9, v16, 0 op_sel_hi:[1,1,0]
	v_fma_mix_f32 v0, v56, v3, v0 op_sel_hi:[1,1,0]
	v_fma_mix_f32 v2, v83, v16, v2 op_sel:[0,1,0] op_sel_hi:[1,1,0]
	v_fma_mix_f32 v0, v55, v3, v0 op_sel:[0,1,0] op_sel_hi:[1,1,0]
	v_fma_mix_f32 v2, v84, v17, v2 op_sel_hi:[1,1,0]
	v_fma_mixlo_f16 v0, v0, v23, 0 op_sel:[0,1,0] op_sel_hi:[0,1,0]
	v_fma_mix_f32 v2, v85, v17, v2 op_sel:[0,1,0] op_sel_hi:[1,1,0]
	v_add_f16_e32 v39, v66, v0
	v_fma_mix_f32 v0, v5, v16, 0 op_sel_hi:[1,1,0]
	v_fma_mix_f32 v2, v86, v18, v2 op_sel_hi:[1,1,0]
	v_fma_mix_f32 v0, v6, v16, v0 op_sel:[0,1,0] op_sel_hi:[1,1,0]
	v_fma_mix_f32 v2, v54, v18, v2 op_sel:[0,1,0] op_sel_hi:[1,1,0]
	v_fma_mix_f32 v0, v4, v17, v0 op_sel_hi:[1,1,0]
	v_fma_mix_f32 v2, v53, v19, v2 op_sel_hi:[1,1,0]
	v_fma_mix_f32 v0, v8, v17, v0 op_sel:[0,1,0] op_sel_hi:[1,1,0]
	v_fma_mix_f32 v2, v52, v19, v2 op_sel:[0,1,0] op_sel_hi:[1,1,0]
	v_fma_mix_f32 v0, v77, v18, v0 op_sel_hi:[1,1,0]
	v_fma_mixlo_f16 v2, v2, v23, 0 op_sel_hi:[0,1,0]
	v_fma_mix_f32 v0, v78, v18, v0 op_sel:[0,1,0] op_sel_hi:[1,1,0]
	v_fma_mix_f32 v0, v48, v19, v0 op_sel_hi:[1,1,0]
	v_fma_mix_f32 v0, v47, v19, v0 op_sel:[0,1,0] op_sel_hi:[1,1,0]
	v_fma_mixlo_f16 v0, v0, v22, 0 op_sel_hi:[0,1,0]
	v_add_f16_e32 v40, v67, v0
	v_fma_mix_f32 v0, v4, v13, v1 op_sel_hi:[1,1,0]
	v_fma_mix_f32 v1, v42, v16, 0 op_sel_hi:[1,1,0]
	v_fma_mix_f32 v0, v8, v13, v0 op_sel:[0,1,0] op_sel_hi:[1,1,0]
	v_fma_mix_f32 v1, v79, v16, v1 op_sel:[0,1,0] op_sel_hi:[1,1,0]
	v_fma_mix_f32 v58, v77, v14, v0 op_sel_hi:[1,1,0]
	v_fma_mix_f32 v1, v80, v17, v1 op_sel_hi:[1,1,0]
	v_add_co_u32 v0, vcc_lo, v26, s4
	v_fma_mix_f32 v1, v81, v17, v1 op_sel:[0,1,0] op_sel_hi:[1,1,0]
	v_fma_mix_f32 v1, v82, v18, v1 op_sel_hi:[1,1,0]
	v_fma_mix_f32 v1, v51, v18, v1 op_sel:[0,1,0] op_sel_hi:[1,1,0]
	v_fma_mix_f32 v1, v50, v19, v1 op_sel_hi:[1,1,0]
	v_fma_mix_f32 v1, v49, v19, v1 op_sel:[0,1,0] op_sel_hi:[1,1,0]
	v_fma_mixlo_f16 v1, v1, v22, 0 op_sel:[0,1,0] op_sel_hi:[0,1,0]
	v_add_f16_e32 v41, v68, v1
	v_fma_mix_f32 v1, v42, v12, 0 op_sel_hi:[1,1,0]
	v_add_f16_e32 v42, v69, v2
	v_fma_mix_f32 v2, v9, v12, 0 op_sel_hi:[1,1,0]
	v_fma_mix_f32 v1, v79, v12, v1 op_sel:[0,1,0] op_sel_hi:[1,1,0]
	v_fma_mix_f32 v5, v83, v12, v2 op_sel:[0,1,0] op_sel_hi:[1,1,0]
	v_fma_mix_f32 v4, v80, v13, v1 op_sel_hi:[1,1,0]
	v_add_co_ci_u32_e64 v1, null, s5, v27, vcc_lo
	v_add_co_u32 v2, vcc_lo, v0, s4
	global_load_dwordx4 v[8:11], v[0:1], off
	v_add_co_ci_u32_e64 v3, null, s5, v1, vcc_lo
	v_fma_mix_f32 v0, v81, v13, v4 op_sel:[0,1,0] op_sel_hi:[1,1,0]
	v_fma_mix_f32 v1, v84, v13, v5 op_sel_hi:[1,1,0]
	v_add_co_u32 v24, vcc_lo, v24, s2
	global_load_dwordx4 v[4:7], v[2:3], off
	v_fma_mix_f32 v2, v87, v16, 0 op_sel_hi:[1,1,0]
	v_fma_mix_f32 v3, v87, v12, 0 op_sel_hi:[1,1,0]
	v_fma_mix_f32 v1, v85, v13, v1 op_sel:[0,1,0] op_sel_hi:[1,1,0]
	v_add_co_ci_u32_e64 v25, null, s3, v25, vcc_lo
	v_fma_mix_f32 v2, v88, v16, v2 op_sel:[0,1,0] op_sel_hi:[1,1,0]
	v_fma_mix_f32 v26, v88, v12, v3 op_sel:[0,1,0] op_sel_hi:[1,1,0]
	;; [unrolled: 1-line block ×3, first 2 shown]
	v_fma_mix_f32 v2, v74, v17, v2 op_sel_hi:[1,1,0]
	v_fma_mix_f32 v26, v74, v13, v26 op_sel_hi:[1,1,0]
	;; [unrolled: 1-line block ×3, first 2 shown]
	v_fma_mix_f32 v2, v73, v17, v2 op_sel:[0,1,0] op_sel_hi:[1,1,0]
	v_fma_mix_f32 v17, v86, v14, v1 op_sel_hi:[1,1,0]
	v_fma_mix_f32 v13, v73, v13, v26 op_sel:[0,1,0] op_sel_hi:[1,1,0]
	v_fma_mix_f32 v2, v72, v18, v2 op_sel_hi:[1,1,0]
	;; [unrolled: 2-line block ×4, first 2 shown]
	v_fma_mix_f32 v17, v53, v15, v17 op_sel_hi:[1,1,0]
	v_fma_mix_f32 v16, v56, v19, v2 op_sel_hi:[1,1,0]
	v_fma_mix_f32 v18, v51, v14, v18 op_sel:[0,1,0] op_sel_hi:[1,1,0]
	v_fma_mix_f32 v17, v52, v15, v17 op_sel:[0,1,0] op_sel_hi:[1,1,0]
	ds_read_b128 v[0:3], v33 offset:48
	v_fma_mix_f32 v16, v55, v19, v16 op_sel:[0,1,0] op_sel_hi:[1,1,0]
	v_fma_mix_f32 v18, v50, v15, v18 op_sel_hi:[1,1,0]
	v_fma_mix_f32 v19, v47, v15, v12 op_sel:[0,1,0] op_sel_hi:[1,1,0]
	v_fma_mixlo_f16 v16, v16, v23, 0 op_sel:[0,1,0] op_sel_hi:[0,1,0]
	v_fma_mix_f32 v18, v49, v15, v18 op_sel:[0,1,0] op_sel_hi:[1,1,0]
	v_add_f16_e32 v12, v46, v16
	v_fma_mixlo_f16 v16, v19, v22, 0 op_sel_hi:[0,1,0]
	v_fma_mix_f32 v19, v57, v14, v13 op_sel:[0,1,0] op_sel_hi:[1,1,0]
	v_fma_mixlo_f16 v18, v18, v22, 0 op_sel:[0,1,0] op_sel_hi:[0,1,0]
	v_add_f16_e32 v13, v45, v16
	v_fma_mixlo_f16 v16, v17, v23, 0 op_sel_hi:[0,1,0]
	v_fma_mix_f32 v17, v56, v15, v19 op_sel_hi:[1,1,0]
	v_add_f16_e32 v14, v44, v18
	v_add_f16_e32 v16, v43, v16
	v_fma_mix_f32 v18, v55, v15, v17 op_sel:[0,1,0] op_sel_hi:[1,1,0]
	v_fma_mixlo_f16 v18, v18, v23, 0 op_sel:[0,1,0] op_sel_hi:[0,1,0]
	v_add_f16_e32 v60, v60, v18
	s_waitcnt vmcnt(1)
	v_sub_nc_u32_sdwa v26, v8, v37 dst_sel:DWORD dst_unused:UNUSED_PAD src0_sel:BYTE_0 src1_sel:DWORD
	v_sub_nc_u32_sdwa v27, v8, v37 dst_sel:DWORD dst_unused:UNUSED_PAD src0_sel:BYTE_2 src1_sel:DWORD
	v_cvt_f32_i32_e32 v19, v26
	v_sub_nc_u32_sdwa v26, v8, v37 dst_sel:DWORD dst_unused:UNUSED_PAD src0_sel:BYTE_1 src1_sel:DWORD
	v_sub_nc_u32_sdwa v8, v8, v37 dst_sel:DWORD dst_unused:UNUSED_PAD src0_sel:BYTE_3 src1_sel:DWORD
	v_cvt_f32_i32_e32 v17, v27
	s_waitcnt vmcnt(0)
	v_sub_nc_u32_sdwa v62, v7, v34 dst_sel:DWORD dst_unused:UNUSED_PAD src0_sel:BYTE_1 src1_sel:DWORD
	v_cvt_f16_f32_e32 v55, v19
	v_cvt_f32_i32_e32 v15, v26
	v_sub_nc_u32_sdwa v19, v4, v37 dst_sel:DWORD dst_unused:UNUSED_PAD src0_sel:BYTE_0 src1_sel:DWORD
	v_cvt_f32_i32_e32 v8, v8
	v_sub_nc_u32_sdwa v26, v4, v37 dst_sel:DWORD dst_unused:UNUSED_PAD src0_sel:BYTE_1 src1_sel:DWORD
	v_cvt_f16_f32_e32 v44, v17
	v_cvt_f16_f32_e32 v45, v15
	v_cvt_f32_i32_e32 v15, v19
	v_sub_nc_u32_sdwa v19, v4, v37 dst_sel:DWORD dst_unused:UNUSED_PAD src0_sel:BYTE_2 src1_sel:DWORD
	v_cvt_f16_f32_e32 v43, v8
	v_sub_nc_u32_sdwa v4, v4, v37 dst_sel:DWORD dst_unused:UNUSED_PAD src0_sel:BYTE_3 src1_sel:DWORD
	v_cvt_f32_i32_e32 v17, v26
	v_sub_nc_u32_sdwa v26, v9, v36 dst_sel:DWORD dst_unused:UNUSED_PAD src0_sel:BYTE_1 src1_sel:DWORD
	v_cvt_f32_i32_e32 v8, v19
	v_sub_nc_u32_sdwa v19, v9, v36 dst_sel:DWORD dst_unused:UNUSED_PAD src0_sel:BYTE_0 src1_sel:DWORD
	v_cvt_f32_i32_e32 v4, v4
	v_sub_nc_u32_sdwa v37, v9, v36 dst_sel:DWORD dst_unused:UNUSED_PAD src0_sel:BYTE_2 src1_sel:DWORD
	v_cvt_f16_f32_e32 v27, v15
	v_cvt_f16_f32_e32 v15, v8
	v_cvt_f32_i32_e32 v19, v19
	v_cvt_f16_f32_e32 v8, v4
	v_cvt_f32_i32_e32 v4, v26
	v_cvt_f32_i32_e32 v26, v37
	v_sub_nc_u32_sdwa v9, v9, v36 dst_sel:DWORD dst_unused:UNUSED_PAD src0_sel:BYTE_3 src1_sel:DWORD
	v_cvt_f16_f32_e32 v56, v19
	v_sub_nc_u32_sdwa v19, v5, v36 dst_sel:DWORD dst_unused:UNUSED_PAD src0_sel:BYTE_0 src1_sel:DWORD
	v_cvt_f16_f32_e32 v49, v4
	v_cvt_f16_f32_e32 v48, v26
	v_cvt_f32_i32_e32 v4, v9
	v_sub_nc_u32_sdwa v9, v5, v36 dst_sel:DWORD dst_unused:UNUSED_PAD src0_sel:BYTE_1 src1_sel:DWORD
	v_cvt_f32_i32_e32 v19, v19
	v_sub_nc_u32_sdwa v26, v5, v36 dst_sel:DWORD dst_unused:UNUSED_PAD src0_sel:BYTE_2 src1_sel:DWORD
	v_sub_nc_u32_sdwa v5, v5, v36 dst_sel:DWORD dst_unused:UNUSED_PAD src0_sel:BYTE_3 src1_sel:DWORD
	v_cvt_f16_f32_e32 v47, v4
	v_cvt_f32_i32_e32 v4, v9
	v_cvt_f16_f32_e32 v46, v19
	v_cvt_f32_i32_e32 v9, v26
	v_cvt_f32_i32_e32 v5, v5
	v_sub_nc_u32_sdwa v19, v10, v35 dst_sel:DWORD dst_unused:UNUSED_PAD src0_sel:BYTE_0 src1_sel:DWORD
	v_cvt_f16_f32_e32 v37, v4
	v_sub_nc_u32_sdwa v4, v10, v35 dst_sel:DWORD dst_unused:UNUSED_PAD src0_sel:BYTE_1 src1_sel:DWORD
	v_cvt_f16_f32_e32 v36, v9
	v_cvt_f16_f32_e32 v9, v5
	v_cvt_f32_i32_e32 v5, v19
	v_sub_nc_u32_sdwa v19, v10, v35 dst_sel:DWORD dst_unused:UNUSED_PAD src0_sel:BYTE_2 src1_sel:DWORD
	v_cvt_f32_i32_e32 v4, v4
	v_sub_nc_u32_sdwa v10, v10, v35 dst_sel:DWORD dst_unused:UNUSED_PAD src0_sel:BYTE_3 src1_sel:DWORD
	v_sub_nc_u32_sdwa v26, v6, v35 dst_sel:DWORD dst_unused:UNUSED_PAD src0_sel:BYTE_0 src1_sel:DWORD
	v_cvt_f16_f32_e32 v57, v5
	v_cvt_f32_i32_e32 v5, v19
	v_cvt_f16_f32_e32 v54, v4
	v_cvt_f32_i32_e32 v4, v10
	v_cvt_f32_i32_e32 v10, v26
	v_sub_nc_u32_sdwa v19, v6, v35 dst_sel:DWORD dst_unused:UNUSED_PAD src0_sel:BYTE_1 src1_sel:DWORD
	v_cvt_f16_f32_e32 v53, v5
	v_sub_nc_u32_sdwa v5, v6, v35 dst_sel:DWORD dst_unused:UNUSED_PAD src0_sel:BYTE_2 src1_sel:DWORD
	v_cvt_f16_f32_e32 v52, v4
	v_cvt_f16_f32_e32 v51, v10
	v_cvt_f32_i32_e32 v4, v19
	v_sub_nc_u32_sdwa v10, v11, v34 dst_sel:DWORD dst_unused:UNUSED_PAD src0_sel:BYTE_0 src1_sel:DWORD
	v_cvt_f32_i32_e32 v5, v5
	s_waitcnt lgkmcnt(0)
	v_fma_mix_f32 v19, v55, v0, 0 op_sel_hi:[1,1,0]
	v_fma_mix_f32 v26, v56, v0, 0 op_sel_hi:[1,1,0]
	v_cvt_f16_f32_e32 v50, v4
	v_cvt_f32_i32_e32 v4, v10
	v_cvt_f16_f32_e32 v10, v5
	v_fma_mix_f32 v5, v45, v0, v19 op_sel:[0,1,0] op_sel_hi:[1,1,0]
	v_fma_mix_f32 v19, v49, v0, v26 op_sel:[0,1,0] op_sel_hi:[1,1,0]
	v_cvt_f16_f32_e32 v17, v17
	v_cvt_f16_f32_e32 v58, v4
	v_sub_nc_u32_sdwa v4, v11, v34 dst_sel:DWORD dst_unused:UNUSED_PAD src0_sel:BYTE_1 src1_sel:DWORD
	v_fma_mix_f32 v5, v44, v1, v5 op_sel_hi:[1,1,0]
	v_fma_mix_f32 v19, v48, v1, v19 op_sel_hi:[1,1,0]
	v_sub_nc_u32_sdwa v26, v11, v34 dst_sel:DWORD dst_unused:UNUSED_PAD src0_sel:BYTE_2 src1_sel:DWORD
	v_sub_nc_u32_sdwa v6, v6, v35 dst_sel:DWORD dst_unused:UNUSED_PAD src0_sel:BYTE_3 src1_sel:DWORD
	v_cvt_f32_i32_e32 v4, v4
	v_fma_mix_f32 v5, v43, v1, v5 op_sel:[0,1,0] op_sel_hi:[1,1,0]
	v_fma_mix_f32 v19, v47, v1, v19 op_sel:[0,1,0] op_sel_hi:[1,1,0]
	v_cvt_f32_i32_e32 v26, v26
	v_sub_nc_u32_sdwa v11, v11, v34 dst_sel:DWORD dst_unused:UNUSED_PAD src0_sel:BYTE_3 src1_sel:DWORD
	v_cvt_f16_f32_e32 v59, v4
	v_fma_mix_f32 v4, v27, v2, v5 op_sel_hi:[1,1,0]
	v_fma_mix_f32 v5, v46, v2, v19 op_sel_hi:[1,1,0]
	v_cvt_f16_f32_e32 v35, v26
	v_sub_nc_u32_sdwa v26, v7, v34 dst_sel:DWORD dst_unused:UNUSED_PAD src0_sel:BYTE_0 src1_sel:DWORD
	v_sub_nc_u32_sdwa v19, v7, v34 dst_sel:DWORD dst_unused:UNUSED_PAD src0_sel:BYTE_2 src1_sel:DWORD
	v_fma_mix_f32 v4, v17, v2, v4 op_sel:[0,1,0] op_sel_hi:[1,1,0]
	v_fma_mix_f32 v5, v37, v2, v5 op_sel:[0,1,0] op_sel_hi:[1,1,0]
	v_sub_nc_u32_sdwa v7, v7, v34 dst_sel:DWORD dst_unused:UNUSED_PAD src0_sel:BYTE_3 src1_sel:DWORD
	v_fma_mix_f32 v34, v57, v0, 0 op_sel_hi:[1,1,0]
	v_fma_mix_f32 v66, v58, v0, 0 op_sel_hi:[1,1,0]
	;; [unrolled: 1-line block ×4, first 2 shown]
	v_cvt_f32_i32_e32 v11, v11
	v_cvt_f32_i32_e32 v26, v26
	v_fma_mix_f32 v67, v54, v0, v34 op_sel:[0,1,0] op_sel_hi:[1,1,0]
	v_fma_mix_f32 v4, v8, v3, v4 op_sel:[0,1,0] op_sel_hi:[1,1,0]
	v_fma_mix_f32 v5, v9, v3, v5 op_sel:[0,1,0] op_sel_hi:[1,1,0]
	v_fma_mix_f32 v0, v59, v0, v66 op_sel:[0,1,0] op_sel_hi:[1,1,0]
	v_cvt_f16_f32_e32 v11, v11
	v_cvt_f16_f32_e32 v34, v26
	v_fma_mixlo_f16 v4, v4, v22, 0 op_sel_hi:[0,1,0]
	v_fma_mixlo_f16 v5, v5, v22, 0 op_sel:[0,1,0] op_sel_hi:[0,1,0]
	v_fma_mix_f32 v26, v53, v1, v67 op_sel_hi:[1,1,0]
	v_fma_mix_f32 v66, v35, v1, v0 op_sel_hi:[1,1,0]
	v_cvt_f32_i32_e32 v0, v62
	v_add_f16_e32 v4, v70, v4
	v_add_f16_e32 v5, v71, v5
	v_fma_mix_f32 v26, v52, v1, v26 op_sel:[0,1,0] op_sel_hi:[1,1,0]
	v_fma_mix_f32 v1, v11, v1, v66 op_sel:[0,1,0] op_sel_hi:[1,1,0]
	ds_read_b128 v[69:72], v33 offset:304
	v_cvt_f32_i32_e32 v19, v19
	v_cvt_f16_f32_e32 v68, v0
	v_fma_mix_f32 v0, v51, v2, v26 op_sel_hi:[1,1,0]
	v_fma_mix_f32 v1, v34, v2, v1 op_sel_hi:[1,1,0]
	v_cvt_f32_i32_e32 v6, v6
	v_cvt_f16_f32_e32 v67, v19
	v_cvt_f32_i32_e32 v7, v7
	v_fma_mix_f32 v0, v50, v2, v0 op_sel:[0,1,0] op_sel_hi:[1,1,0]
	v_fma_mix_f32 v1, v68, v2, v1 op_sel:[0,1,0] op_sel_hi:[1,1,0]
	v_cvt_f16_f32_e32 v66, v6
	v_pack_b32_f16 v18, v4, v5
	v_cvt_f16_f32_e32 v62, v7
	v_fma_mix_f32 v0, v10, v3, v0 op_sel_hi:[1,1,0]
	v_fma_mix_f32 v1, v67, v3, v1 op_sel_hi:[1,1,0]
	v_fma_mix_f32 v6, v66, v3, v0 op_sel:[0,1,0] op_sel_hi:[1,1,0]
	v_fma_mix_f32 v7, v62, v3, v1 op_sel:[0,1,0] op_sel_hi:[1,1,0]
	s_waitcnt lgkmcnt(0)
	v_fma_mix_f32 v0, v55, v69, 0 op_sel_hi:[1,1,0]
	v_fma_mix_f32 v1, v56, v69, 0 op_sel_hi:[1,1,0]
	;; [unrolled: 1-line block ×4, first 2 shown]
	v_fma_mixlo_f16 v6, v6, v23, 0 op_sel_hi:[0,1,0]
	v_fma_mix_f32 v0, v45, v69, v0 op_sel:[0,1,0] op_sel_hi:[1,1,0]
	v_fma_mix_f32 v1, v49, v69, v1 op_sel:[0,1,0] op_sel_hi:[1,1,0]
	;; [unrolled: 1-line block ×4, first 2 shown]
	v_add_f16_e32 v19, v63, v6
	v_fma_mix_f32 v0, v44, v70, v0 op_sel_hi:[1,1,0]
	v_fma_mix_f32 v1, v48, v70, v1 op_sel_hi:[1,1,0]
	;; [unrolled: 1-line block ×4, first 2 shown]
	v_fma_mixlo_f16 v7, v7, v23, 0 op_sel:[0,1,0] op_sel_hi:[0,1,0]
	v_fma_mix_f32 v0, v43, v70, v0 op_sel:[0,1,0] op_sel_hi:[1,1,0]
	v_fma_mix_f32 v1, v47, v70, v1 op_sel:[0,1,0] op_sel_hi:[1,1,0]
	;; [unrolled: 1-line block ×4, first 2 shown]
	v_add_f16_e32 v26, v64, v7
	v_fma_mix_f32 v0, v27, v71, v0 op_sel_hi:[1,1,0]
	v_fma_mix_f32 v1, v46, v71, v1 op_sel_hi:[1,1,0]
	;; [unrolled: 1-line block ×4, first 2 shown]
	v_pack_b32_f16 v26, v19, v26
	v_fma_mix_f32 v0, v17, v71, v0 op_sel:[0,1,0] op_sel_hi:[1,1,0]
	v_fma_mix_f32 v1, v37, v71, v1 op_sel:[0,1,0] op_sel_hi:[1,1,0]
	;; [unrolled: 1-line block ×4, first 2 shown]
	v_fma_mix_f32 v0, v15, v72, v0 op_sel_hi:[1,1,0]
	v_fma_mix_f32 v1, v36, v72, v1 op_sel_hi:[1,1,0]
	;; [unrolled: 1-line block ×4, first 2 shown]
	v_fma_mix_f32 v71, v8, v72, v0 op_sel:[0,1,0] op_sel_hi:[1,1,0]
	v_fma_mix_f32 v73, v9, v72, v1 op_sel:[0,1,0] op_sel_hi:[1,1,0]
	v_fma_mix_f32 v69, v66, v72, v2 op_sel:[0,1,0] op_sel_hi:[1,1,0]
	v_fma_mix_f32 v70, v62, v72, v3 op_sel:[0,1,0] op_sel_hi:[1,1,0]
	ds_read_b128 v[0:3], v33 offset:560
	v_fma_mixlo_f16 v7, v71, v22, 0 op_sel_hi:[0,1,0]
	v_fma_mixlo_f16 v72, v73, v22, 0 op_sel:[0,1,0] op_sel_hi:[0,1,0]
	v_add_f16_e32 v63, v65, v7
	v_add_f16_e32 v61, v61, v72
	v_pack_b32_f16 v19, v63, v61
	s_waitcnt lgkmcnt(0)
	v_fma_mix_f32 v4, v55, v0, 0 op_sel_hi:[1,1,0]
	v_fma_mix_f32 v5, v56, v0, 0 op_sel_hi:[1,1,0]
	v_fma_mix_f32 v6, v57, v0, 0 op_sel_hi:[1,1,0]
	v_fma_mix_f32 v4, v45, v0, v4 op_sel:[0,1,0] op_sel_hi:[1,1,0]
	v_fma_mix_f32 v5, v49, v0, v5 op_sel:[0,1,0] op_sel_hi:[1,1,0]
	v_fma_mix_f32 v6, v54, v0, v6 op_sel:[0,1,0] op_sel_hi:[1,1,0]
	v_fma_mix_f32 v4, v44, v1, v4 op_sel_hi:[1,1,0]
	v_fma_mix_f32 v5, v48, v1, v5 op_sel_hi:[1,1,0]
	v_fma_mix_f32 v6, v53, v1, v6 op_sel_hi:[1,1,0]
	v_fma_mix_f32 v4, v43, v1, v4 op_sel:[0,1,0] op_sel_hi:[1,1,0]
	v_fma_mix_f32 v5, v47, v1, v5 op_sel:[0,1,0] op_sel_hi:[1,1,0]
	v_fma_mix_f32 v6, v52, v1, v6 op_sel:[0,1,0] op_sel_hi:[1,1,0]
	;; [unrolled: 6-line block ×3, first 2 shown]
	ds_read_b128 v[4:7], v33 offset:816
	v_fma_mix_f32 v33, v15, v3, v64 op_sel_hi:[1,1,0]
	v_fma_mix_f32 v64, v36, v3, v65 op_sel_hi:[1,1,0]
	;; [unrolled: 1-line block ×3, first 2 shown]
	v_fma_mix_f32 v33, v8, v3, v33 op_sel:[0,1,0] op_sel_hi:[1,1,0]
	v_fma_mix_f32 v61, v9, v3, v64 op_sel:[0,1,0] op_sel_hi:[1,1,0]
	;; [unrolled: 1-line block ×3, first 2 shown]
	v_fma_mixlo_f16 v64, v69, v23, 0 op_sel_hi:[0,1,0]
	v_fma_mixlo_f16 v65, v70, v23, 0 op_sel:[0,1,0] op_sel_hi:[0,1,0]
	v_fma_mixlo_f16 v69, v33, v22, 0 op_sel_hi:[0,1,0]
	v_fma_mixlo_f16 v61, v61, v22, 0 op_sel:[0,1,0] op_sel_hi:[0,1,0]
	v_fma_mixlo_f16 v63, v63, v23, 0 op_sel_hi:[0,1,0]
	v_add_f16_e32 v33, v38, v64
	v_add_f16_e32 v38, v39, v65
	;; [unrolled: 1-line block ×4, first 2 shown]
	v_fma_mix_f32 v41, v58, v0, 0 op_sel_hi:[1,1,0]
	s_waitcnt lgkmcnt(0)
	v_fma_mix_f32 v55, v55, v4, 0 op_sel_hi:[1,1,0]
	v_fma_mix_f32 v56, v56, v4, 0 op_sel_hi:[1,1,0]
	v_fma_mix_f32 v57, v57, v4, 0 op_sel_hi:[1,1,0]
	v_fma_mix_f32 v58, v58, v4, 0 op_sel_hi:[1,1,0]
	v_fma_mix_f32 v0, v59, v0, v41 op_sel:[0,1,0] op_sel_hi:[1,1,0]
	v_fma_mix_f32 v41, v45, v4, v55 op_sel:[0,1,0] op_sel_hi:[1,1,0]
	v_fma_mix_f32 v45, v49, v4, v56 op_sel:[0,1,0] op_sel_hi:[1,1,0]
	v_fma_mix_f32 v49, v54, v4, v57 op_sel:[0,1,0] op_sel_hi:[1,1,0]
	v_fma_mix_f32 v4, v59, v4, v58 op_sel:[0,1,0] op_sel_hi:[1,1,0]
	v_fma_mix_f32 v0, v35, v1, v0 op_sel_hi:[1,1,0]
	v_fma_mix_f32 v41, v44, v5, v41 op_sel_hi:[1,1,0]
	v_fma_mix_f32 v44, v48, v5, v45 op_sel_hi:[1,1,0]
	v_fma_mix_f32 v45, v53, v5, v49 op_sel_hi:[1,1,0]
	v_fma_mix_f32 v4, v35, v5, v4 op_sel_hi:[1,1,0]
	v_fma_mix_f32 v0, v11, v1, v0 op_sel:[0,1,0] op_sel_hi:[1,1,0]
	v_fma_mix_f32 v1, v43, v5, v41 op_sel:[0,1,0] op_sel_hi:[1,1,0]
	v_fma_mix_f32 v35, v47, v5, v44 op_sel:[0,1,0] op_sel_hi:[1,1,0]
	v_fma_mix_f32 v41, v52, v5, v45 op_sel:[0,1,0] op_sel_hi:[1,1,0]
	v_fma_mix_f32 v4, v11, v5, v4 op_sel:[0,1,0] op_sel_hi:[1,1,0]
	v_fma_mix_f32 v0, v34, v2, v0 op_sel_hi:[1,1,0]
	;; [unrolled: 10-line block ×3, first 2 shown]
	v_fma_mix_f32 v1, v15, v7, v1 op_sel_hi:[1,1,0]
	v_fma_mix_f32 v2, v36, v7, v2 op_sel_hi:[1,1,0]
	;; [unrolled: 1-line block ×4, first 2 shown]
	v_fma_mix_f32 v0, v62, v3, v0 op_sel:[0,1,0] op_sel_hi:[1,1,0]
	v_fma_mix_f32 v1, v8, v7, v1 op_sel:[0,1,0] op_sel_hi:[1,1,0]
	;; [unrolled: 1-line block ×5, first 2 shown]
	v_fma_mixlo_f16 v0, v0, v23, 0 op_sel:[0,1,0] op_sel_hi:[0,1,0]
	v_fma_mixlo_f16 v1, v1, v22, 0 op_sel_hi:[0,1,0]
	v_fma_mixlo_f16 v2, v2, v22, 0 op_sel:[0,1,0] op_sel_hi:[0,1,0]
	v_fma_mixlo_f16 v3, v3, v23, 0 op_sel_hi:[0,1,0]
	v_fma_mixlo_f16 v4, v4, v23, 0 op_sel:[0,1,0] op_sel_hi:[0,1,0]
	v_add_f16_e32 v42, v42, v63
	v_add_f16_e32 v0, v12, v0
	;; [unrolled: 1-line block ×6, first 2 shown]
	v_pack_b32_f16 v41, v33, v38
	v_pack_b32_f16 v39, v39, v40
	;; [unrolled: 1-line block ×5, first 2 shown]
	s_cbranch_scc1 .LBB30_16
.LBB30_14:                              ; =>This Inner Loop Header: Depth=1
	s_cmp_lg_u32 s18, s8
	s_cbranch_scc1 .LBB30_13
; %bb.15:                               ;   in Loop: Header=BB30_14 Depth=1
	s_add_i32 s17, s17, 1
	s_add_i32 s8, s8, s16
	s_mul_i32 s1, s17, s0
	s_ashr_i32 s9, s1, 31
	v_add_nc_u32_e32 v2, s1, v20
	s_lshr_b32 s9, s9, 30
	s_add_i32 s9, s1, s9
	v_ashrrev_i32_e32 v3, 31, v2
	s_ashr_i32 s9, s9, 2
	v_add_nc_u32_e32 v0, s9, v28
	v_lshlrev_b64 v[2:3], 1, v[2:3]
	v_ashrrev_i32_e32 v1, 31, v0
	v_lshlrev_b64 v[0:1], 2, v[0:1]
	v_add_co_u32 v0, vcc_lo, s10, v0
	v_add_co_ci_u32_e64 v1, null, s11, v1, vcc_lo
	global_load_dword v4, v[0:1], off
	v_add_co_u32 v0, vcc_lo, s12, v2
	v_add_co_ci_u32_e64 v1, null, s13, v3, vcc_lo
	global_load_dwordx2 v[22:23], v[0:1], off
	s_waitcnt vmcnt(1)
	v_and_b32_e32 v29, 0xff, v4
	v_bfe_u32 v30, v4, 8, 8
	v_bfe_u32 v31, v4, 16, 8
	v_lshrrev_b32_e32 v32, 24, v4
	s_branch .LBB30_13
.LBB30_16:
	v_mad_u64_u32 v[0:1], null, s7, s0, v[20:21]
	s_mov_b32 s1, 0
	v_ashrrev_i32_e32 v1, 31, v0
	v_lshlrev_b64 v[1:2], 1, v[0:1]
	v_add_co_u32 v1, vcc_lo, s14, v1
	v_add_co_ci_u32_e64 v2, null, s15, v2, vcc_lo
	global_load_dword v4, v[1:2], off
.LBB30_17:                              ; =>This Inner Loop Header: Depth=1
	s_waitcnt vmcnt(0)
	v_pk_add_f16 v3, v18, v4
	global_atomic_cmpswap v3, v[1:2], v[3:4], off glc
	s_waitcnt vmcnt(0)
	v_cmp_eq_u32_e32 vcc_lo, v4, v3
	v_mov_b32_e32 v4, v3
	s_or_b32 s1, vcc_lo, s1
	s_andn2_b32 exec_lo, exec_lo, s1
	s_cbranch_execnz .LBB30_17
; %bb.18:
	s_or_b32 exec_lo, exec_lo, s1
	global_load_dword v4, v[1:2], off offset:4
	s_mov_b32 s1, 0
.LBB30_19:                              ; =>This Inner Loop Header: Depth=1
	s_waitcnt vmcnt(0)
	v_pk_add_f16 v3, v26, v4
	global_atomic_cmpswap v3, v[1:2], v[3:4], off offset:4 glc
	s_waitcnt vmcnt(0)
	v_cmp_eq_u32_e32 vcc_lo, v4, v3
	v_mov_b32_e32 v4, v3
	s_or_b32 s1, vcc_lo, s1
	s_andn2_b32 exec_lo, exec_lo, s1
	s_cbranch_execnz .LBB30_19
; %bb.20:
	s_or_b32 exec_lo, exec_lo, s1
	v_add_nc_u32_e32 v0, s0, v0
	s_mov_b32 s1, 0
	v_ashrrev_i32_e32 v1, 31, v0
	v_lshlrev_b64 v[1:2], 1, v[0:1]
	v_add_co_u32 v1, vcc_lo, s14, v1
	v_add_co_ci_u32_e64 v2, null, s15, v2, vcc_lo
	global_load_dword v4, v[1:2], off
.LBB30_21:                              ; =>This Inner Loop Header: Depth=1
	s_waitcnt vmcnt(0)
	v_pk_add_f16 v3, v19, v4
	global_atomic_cmpswap v3, v[1:2], v[3:4], off glc
	s_waitcnt vmcnt(0)
	v_cmp_eq_u32_e32 vcc_lo, v4, v3
	v_mov_b32_e32 v4, v3
	s_or_b32 s1, vcc_lo, s1
	s_andn2_b32 exec_lo, exec_lo, s1
	s_cbranch_execnz .LBB30_21
; %bb.22:
	s_or_b32 exec_lo, exec_lo, s1
	global_load_dword v4, v[1:2], off offset:4
	s_mov_b32 s1, 0
.LBB30_23:                              ; =>This Inner Loop Header: Depth=1
	s_waitcnt vmcnt(0)
	v_pk_add_f16 v3, v41, v4
	global_atomic_cmpswap v3, v[1:2], v[3:4], off offset:4 glc
	s_waitcnt vmcnt(0)
	v_cmp_eq_u32_e32 vcc_lo, v4, v3
	v_mov_b32_e32 v4, v3
	s_or_b32 s1, vcc_lo, s1
	s_andn2_b32 exec_lo, exec_lo, s1
	s_cbranch_execnz .LBB30_23
; %bb.24:
	s_or_b32 exec_lo, exec_lo, s1
	v_add_nc_u32_e32 v0, s0, v0
	;; [unrolled: 33-line block ×3, first 2 shown]
	s_mov_b32 s0, 0
	v_ashrrev_i32_e32 v1, 31, v0
	v_lshlrev_b64 v[0:1], 1, v[0:1]
	v_add_co_u32 v0, vcc_lo, s14, v0
	v_add_co_ci_u32_e64 v1, null, s15, v1, vcc_lo
	global_load_dword v3, v[0:1], off
.LBB30_29:                              ; =>This Inner Loop Header: Depth=1
	s_waitcnt vmcnt(0)
	v_pk_add_f16 v2, v40, v3
	global_atomic_cmpswap v2, v[0:1], v[2:3], off glc
	s_waitcnt vmcnt(0)
	v_cmp_eq_u32_e32 vcc_lo, v3, v2
	v_mov_b32_e32 v3, v2
	s_or_b32 s0, vcc_lo, s0
	s_andn2_b32 exec_lo, exec_lo, s0
	s_cbranch_execnz .LBB30_29
; %bb.30:
	s_or_b32 exec_lo, exec_lo, s0
	global_load_dword v3, v[0:1], off offset:4
	s_mov_b32 s0, 0
.LBB30_31:                              ; =>This Inner Loop Header: Depth=1
	s_waitcnt vmcnt(0)
	v_pk_add_f16 v2, v27, v3
	global_atomic_cmpswap v2, v[0:1], v[2:3], off offset:4 glc
	s_waitcnt vmcnt(0)
	v_cmp_eq_u32_e32 vcc_lo, v3, v2
	v_mov_b32_e32 v3, v2
	s_or_b32 s0, vcc_lo, s0
	s_andn2_b32 exec_lo, exec_lo, s0
	s_cbranch_execnz .LBB30_31
.LBB30_32:
	s_endpgm
	.section	.rodata,"a",@progbits
	.p2align	6, 0x0
	.amdhsa_kernel _ZN4vllm4gptq33gemm_half_q_half_gptq_8bit_kernelILb1ELi4EEEvPK6__halfPKjS6_S4_PS2_iiiibPKi
		.amdhsa_group_segment_fixed_size 1024
		.amdhsa_private_segment_fixed_size 0
		.amdhsa_kernarg_size 72
		.amdhsa_user_sgpr_count 6
		.amdhsa_user_sgpr_private_segment_buffer 1
		.amdhsa_user_sgpr_dispatch_ptr 0
		.amdhsa_user_sgpr_queue_ptr 0
		.amdhsa_user_sgpr_kernarg_segment_ptr 1
		.amdhsa_user_sgpr_dispatch_id 0
		.amdhsa_user_sgpr_flat_scratch_init 0
		.amdhsa_user_sgpr_private_segment_size 0
		.amdhsa_wavefront_size32 1
		.amdhsa_uses_dynamic_stack 0
		.amdhsa_system_sgpr_private_segment_wavefront_offset 0
		.amdhsa_system_sgpr_workgroup_id_x 1
		.amdhsa_system_sgpr_workgroup_id_y 1
		.amdhsa_system_sgpr_workgroup_id_z 1
		.amdhsa_system_sgpr_workgroup_info 0
		.amdhsa_system_vgpr_workitem_id 0
		.amdhsa_next_free_vgpr 94
		.amdhsa_next_free_sgpr 24
		.amdhsa_reserve_vcc 1
		.amdhsa_reserve_flat_scratch 0
		.amdhsa_float_round_mode_32 0
		.amdhsa_float_round_mode_16_64 0
		.amdhsa_float_denorm_mode_32 3
		.amdhsa_float_denorm_mode_16_64 3
		.amdhsa_dx10_clamp 1
		.amdhsa_ieee_mode 1
		.amdhsa_fp16_overflow 0
		.amdhsa_workgroup_processor_mode 1
		.amdhsa_memory_ordered 1
		.amdhsa_forward_progress 1
		.amdhsa_shared_vgpr_count 0
		.amdhsa_exception_fp_ieee_invalid_op 0
		.amdhsa_exception_fp_denorm_src 0
		.amdhsa_exception_fp_ieee_div_zero 0
		.amdhsa_exception_fp_ieee_overflow 0
		.amdhsa_exception_fp_ieee_underflow 0
		.amdhsa_exception_fp_ieee_inexact 0
		.amdhsa_exception_int_div_zero 0
	.end_amdhsa_kernel
	.section	.text._ZN4vllm4gptq33gemm_half_q_half_gptq_8bit_kernelILb1ELi4EEEvPK6__halfPKjS6_S4_PS2_iiiibPKi,"axG",@progbits,_ZN4vllm4gptq33gemm_half_q_half_gptq_8bit_kernelILb1ELi4EEEvPK6__halfPKjS6_S4_PS2_iiiibPKi,comdat
.Lfunc_end30:
	.size	_ZN4vllm4gptq33gemm_half_q_half_gptq_8bit_kernelILb1ELi4EEEvPK6__halfPKjS6_S4_PS2_iiiibPKi, .Lfunc_end30-_ZN4vllm4gptq33gemm_half_q_half_gptq_8bit_kernelILb1ELi4EEEvPK6__halfPKjS6_S4_PS2_iiiibPKi
                                        ; -- End function
	.set _ZN4vllm4gptq33gemm_half_q_half_gptq_8bit_kernelILb1ELi4EEEvPK6__halfPKjS6_S4_PS2_iiiibPKi.num_vgpr, 94
	.set _ZN4vllm4gptq33gemm_half_q_half_gptq_8bit_kernelILb1ELi4EEEvPK6__halfPKjS6_S4_PS2_iiiibPKi.num_agpr, 0
	.set _ZN4vllm4gptq33gemm_half_q_half_gptq_8bit_kernelILb1ELi4EEEvPK6__halfPKjS6_S4_PS2_iiiibPKi.numbered_sgpr, 24
	.set _ZN4vllm4gptq33gemm_half_q_half_gptq_8bit_kernelILb1ELi4EEEvPK6__halfPKjS6_S4_PS2_iiiibPKi.num_named_barrier, 0
	.set _ZN4vllm4gptq33gemm_half_q_half_gptq_8bit_kernelILb1ELi4EEEvPK6__halfPKjS6_S4_PS2_iiiibPKi.private_seg_size, 0
	.set _ZN4vllm4gptq33gemm_half_q_half_gptq_8bit_kernelILb1ELi4EEEvPK6__halfPKjS6_S4_PS2_iiiibPKi.uses_vcc, 1
	.set _ZN4vllm4gptq33gemm_half_q_half_gptq_8bit_kernelILb1ELi4EEEvPK6__halfPKjS6_S4_PS2_iiiibPKi.uses_flat_scratch, 0
	.set _ZN4vllm4gptq33gemm_half_q_half_gptq_8bit_kernelILb1ELi4EEEvPK6__halfPKjS6_S4_PS2_iiiibPKi.has_dyn_sized_stack, 0
	.set _ZN4vllm4gptq33gemm_half_q_half_gptq_8bit_kernelILb1ELi4EEEvPK6__halfPKjS6_S4_PS2_iiiibPKi.has_recursion, 0
	.set _ZN4vllm4gptq33gemm_half_q_half_gptq_8bit_kernelILb1ELi4EEEvPK6__halfPKjS6_S4_PS2_iiiibPKi.has_indirect_call, 0
	.section	.AMDGPU.csdata,"",@progbits
; Kernel info:
; codeLenInByte = 9288
; TotalNumSgprs: 26
; NumVgprs: 94
; ScratchSize: 0
; MemoryBound: 0
; FloatMode: 240
; IeeeMode: 1
; LDSByteSize: 1024 bytes/workgroup (compile time only)
; SGPRBlocks: 0
; VGPRBlocks: 11
; NumSGPRsForWavesPerEU: 26
; NumVGPRsForWavesPerEU: 94
; Occupancy: 10
; WaveLimiterHint : 0
; COMPUTE_PGM_RSRC2:SCRATCH_EN: 0
; COMPUTE_PGM_RSRC2:USER_SGPR: 6
; COMPUTE_PGM_RSRC2:TRAP_HANDLER: 0
; COMPUTE_PGM_RSRC2:TGID_X_EN: 1
; COMPUTE_PGM_RSRC2:TGID_Y_EN: 1
; COMPUTE_PGM_RSRC2:TGID_Z_EN: 1
; COMPUTE_PGM_RSRC2:TIDIG_COMP_CNT: 0
	.section	.text._ZN4vllm4gptq33gemm_half_q_half_gptq_2bit_kernelILb1ELi5EEEvPK6__halfPKjS6_S4_PS2_iiiibPKi,"axG",@progbits,_ZN4vllm4gptq33gemm_half_q_half_gptq_2bit_kernelILb1ELi5EEEvPK6__halfPKjS6_S4_PS2_iiiibPKi,comdat
	.protected	_ZN4vllm4gptq33gemm_half_q_half_gptq_2bit_kernelILb1ELi5EEEvPK6__halfPKjS6_S4_PS2_iiiibPKi ; -- Begin function _ZN4vllm4gptq33gemm_half_q_half_gptq_2bit_kernelILb1ELi5EEEvPK6__halfPKjS6_S4_PS2_iiiibPKi
	.globl	_ZN4vllm4gptq33gemm_half_q_half_gptq_2bit_kernelILb1ELi5EEEvPK6__halfPKjS6_S4_PS2_iiiibPKi
	.p2align	8
	.type	_ZN4vllm4gptq33gemm_half_q_half_gptq_2bit_kernelILb1ELi5EEEvPK6__halfPKjS6_S4_PS2_iiiibPKi,@function
_ZN4vllm4gptq33gemm_half_q_half_gptq_2bit_kernelILb1ELi5EEEvPK6__halfPKjS6_S4_PS2_iiiibPKi: ; @_ZN4vllm4gptq33gemm_half_q_half_gptq_2bit_kernelILb1ELi5EEEvPK6__halfPKjS6_S4_PS2_iiiibPKi
; %bb.0:
	s_load_dwordx4 s[0:3], s[4:5], 0x2c
	s_lshl_b32 s18, s8, 7
	s_mul_i32 s7, s7, 5
	s_add_i32 s8, s18, 0x80
	s_mov_b32 s20, exec_lo
	v_cvt_f64_u32_e32 v[1:2], s8
	s_load_dwordx8 s[8:15], s[4:5], 0x8
	s_waitcnt lgkmcnt(0)
	v_cvt_f64_i32_e32 v[3:4], s1
	v_min_f64 v[1:2], v[1:2], v[3:4]
	v_cvt_i32_f64_e32 v2, v[1:2]
	v_add_nc_u32_e32 v1, s18, v0
	v_readfirstlane_b32 s19, v2
	v_cmpx_lt_u32_e64 v1, v2
	s_cbranch_execz .LBB31_12
; %bb.1:
	s_clause 0x1
	s_load_dwordx2 s[16:17], s[4:5], 0x40
	s_load_dwordx2 s[4:5], s[4:5], 0x0
	v_mov_b32_e32 v2, 0
	v_lshlrev_b64 v[3:4], 2, v[1:2]
	v_mov_b32_e32 v6, v2
	v_mov_b32_e32 v5, v1
	s_waitcnt lgkmcnt(0)
	v_add_co_u32 v3, vcc_lo, s16, v3
	v_add_co_ci_u32_e64 v4, null, s17, v4, vcc_lo
	s_cmp_lg_u64 s[16:17], 0
	s_cselect_b32 s21, -1, 0
	s_cmp_eq_u64 s[16:17], 0
	s_cbranch_scc1 .LBB31_3
; %bb.2:
	global_load_dword v5, v[3:4], off
	s_waitcnt vmcnt(0)
	v_ashrrev_i32_e32 v6, 31, v5
.LBB31_3:
	s_mul_i32 s16, s7, s1
	v_lshlrev_b64 v[5:6], 1, v[5:6]
	s_ashr_i32 s17, s16, 31
	v_cndmask_b32_e64 v8, 0, 1, s21
	s_lshl_b64 s[22:23], s[16:17], 1
	v_lshlrev_b32_e32 v7, 1, v0
	s_add_u32 s17, s4, s22
	s_addc_u32 s22, s5, s23
	v_add_co_u32 v5, vcc_lo, s17, v5
	v_add_co_ci_u32_e64 v6, null, s22, v6, vcc_lo
	s_andn2_b32 vcc_lo, exec_lo, s21
	global_load_ushort v9, v[5:6], off
	v_mov_b32_e32 v6, v2
	v_mov_b32_e32 v5, v1
	s_waitcnt vmcnt(0)
	ds_write_b16 v7, v9
	s_cbranch_vccnz .LBB31_5
; %bb.4:
	global_load_dword v5, v[3:4], off
	s_waitcnt vmcnt(0)
	v_ashrrev_i32_e32 v6, 31, v5
.LBB31_5:
	s_add_i32 s16, s16, s1
	v_lshlrev_b64 v[5:6], 1, v[5:6]
	s_ashr_i32 s17, s16, 31
	s_lshl_b64 s[22:23], s[16:17], 1
	s_add_u32 s17, s4, s22
	s_addc_u32 s21, s5, s23
	v_add_co_u32 v5, vcc_lo, s17, v5
	v_add_co_ci_u32_e64 v6, null, s21, v6, vcc_lo
	v_cmp_ne_u32_e32 vcc_lo, 1, v8
	global_load_ushort v9, v[5:6], off
	v_mov_b32_e32 v6, v2
	v_mov_b32_e32 v5, v1
	s_waitcnt vmcnt(0)
	ds_write_b16 v7, v9 offset:256
	s_cbranch_vccnz .LBB31_7
; %bb.6:
	global_load_dword v5, v[3:4], off
	s_waitcnt vmcnt(0)
	v_ashrrev_i32_e32 v6, 31, v5
.LBB31_7:
	s_add_i32 s16, s16, s1
	v_lshlrev_b64 v[5:6], 1, v[5:6]
	s_ashr_i32 s17, s16, 31
	s_lshl_b64 s[22:23], s[16:17], 1
	s_add_u32 s17, s4, s22
	s_addc_u32 s21, s5, s23
	v_add_co_u32 v5, vcc_lo, s17, v5
	v_add_co_ci_u32_e64 v6, null, s21, v6, vcc_lo
	v_cmp_ne_u32_e32 vcc_lo, 1, v8
	global_load_ushort v9, v[5:6], off
	v_mov_b32_e32 v6, v2
	v_mov_b32_e32 v5, v1
	s_waitcnt vmcnt(0)
	ds_write_b16 v7, v9 offset:512
	s_cbranch_vccnz .LBB31_9
; %bb.8:
	global_load_dword v5, v[3:4], off
	s_waitcnt vmcnt(0)
	v_ashrrev_i32_e32 v6, 31, v5
.LBB31_9:
	s_add_i32 s16, s16, s1
	v_lshlrev_b64 v[5:6], 1, v[5:6]
	s_ashr_i32 s17, s16, 31
	s_lshl_b64 s[22:23], s[16:17], 1
	s_add_u32 s17, s4, s22
	s_addc_u32 s21, s5, s23
	v_add_co_u32 v5, vcc_lo, s17, v5
	v_add_co_ci_u32_e64 v6, null, s21, v6, vcc_lo
	v_cmp_ne_u32_e32 vcc_lo, 1, v8
	global_load_ushort v5, v[5:6], off
	s_waitcnt vmcnt(0)
	ds_write_b16 v7, v5 offset:768
	s_cbranch_vccnz .LBB31_11
; %bb.10:
	global_load_dword v1, v[3:4], off
	s_waitcnt vmcnt(0)
	v_ashrrev_i32_e32 v2, 31, v1
.LBB31_11:
	s_add_i32 s16, s16, s1
	v_lshlrev_b64 v[1:2], 1, v[1:2]
	s_ashr_i32 s17, s16, 31
	s_lshl_b64 s[16:17], s[16:17], 1
	s_add_u32 s4, s4, s16
	s_addc_u32 s5, s5, s17
	v_add_co_u32 v1, vcc_lo, s4, v1
	v_add_co_ci_u32_e64 v2, null, s5, v2, vcc_lo
	global_load_ushort v1, v[1:2], off
	s_waitcnt vmcnt(0)
	ds_write_b16 v7, v1 offset:1024
.LBB31_12:
	s_or_b32 exec_lo, exec_lo, s20
	v_lshlrev_b32_e32 v1, 2, v0
	s_mov_b32 s4, exec_lo
	v_lshl_add_u32 v1, s6, 9, v1
	v_cmpx_gt_i32_e64 s0, v1
	s_cbranch_execz .LBB31_38
; %bb.13:
	s_abs_i32 s5, s2
	v_mov_b32_e32 v25, 0
	v_cvt_f32_u32_e32 v2, s5
	v_mov_b32_e32 v23, 0
	v_mov_b32_e32 v22, 0
	;; [unrolled: 1-line block ×4, first 2 shown]
	v_rcp_iflag_f32_e32 v2, v2
	v_mov_b32_e32 v19, 0
	v_mov_b32_e32 v18, 0
	;; [unrolled: 1-line block ×5, first 2 shown]
	s_cmp_ge_i32 s18, s19
	s_mov_b32 s4, 0
	s_waitcnt lgkmcnt(0)
	s_barrier
	v_mul_f32_e32 v2, 0x4f7ffffe, v2
	buffer_gl0_inv
	v_cvt_u32_f32_e32 v2, v2
	v_readfirstlane_b32 s6, v2
	s_cbranch_scc1 .LBB31_18
; %bb.14:
	s_sub_i32 s16, 0, s5
	s_abs_i32 s17, s1
	s_mul_i32 s16, s16, s6
	s_ashr_i32 s1, s1, 31
	s_mul_hi_u32 s16, s6, s16
	s_ashr_i32 s2, s2, 31
	s_add_i32 s6, s6, s16
	s_xor_b32 s1, s1, s2
	s_mul_hi_u32 s6, s17, s6
	v_lshlrev_b32_e32 v8, 3, v0
	s_mul_i32 s16, s6, s5
	v_mov_b32_e32 v15, 0
	s_sub_i32 s2, s17, s16
	s_add_i32 s16, s6, 1
	s_sub_i32 s17, s2, s5
	s_cmp_ge_u32 s2, s5
	v_and_b32_e32 v26, 24, v8
	s_cselect_b32 s6, s16, s6
	s_cselect_b32 s2, s17, s2
	s_add_i32 s16, s6, 1
	s_cmp_ge_u32 s2, s5
	v_mov_b32_e32 v0, 0x10001
	s_cselect_b32 s2, s16, s6
	v_mov_b32_e32 v16, 0
	s_xor_b32 s2, s2, s1
	v_mov_b32_e32 v17, 0
	s_sub_i32 s5, s2, s1
	s_bitcmp1_b32 s3, 0
	v_cvt_f32_u32_e32 v2, s5
	s_cselect_b32 s2, -1, 0
	s_sub_i32 s3, 0, s5
	s_xor_b32 s20, s2, -1
	v_mov_b32_e32 v18, 0
	v_rcp_iflag_f32_e32 v2, v2
	v_mov_b32_e32 v19, 0
	v_mov_b32_e32 v20, 0
	v_mov_b32_e32 v21, 0
	v_mov_b32_e32 v22, 0
	v_mov_b32_e32 v23, 0
	v_mov_b32_e32 v25, 0
	s_mov_b32 s16, 0x10001
	s_mov_b32 s17, 0x30003
	v_mul_f32_e32 v2, 0x4f7ffffe, v2
	v_cvt_u32_f32_e32 v2, v2
	v_readfirstlane_b32 s1, v2
	v_ashrrev_i32_e32 v2, 31, v1
	s_mul_i32 s3, s3, s1
	v_lshrrev_b32_e32 v3, 28, v2
	s_mul_hi_u32 s3, s1, s3
	s_add_i32 s1, s1, s3
	v_add_nc_u32_e32 v3, v1, v3
	s_mul_hi_u32 s1, s18, s1
	s_mul_i32 s3, s1, s5
	s_sub_i32 s2, s18, s3
	s_add_i32 s3, s1, 1
	s_sub_i32 s6, s2, s5
	s_cmp_ge_u32 s2, s5
	v_ashrrev_i32_e32 v24, 4, v3
	s_cselect_b32 s1, s3, s1
	s_cselect_b32 s2, s6, s2
	s_add_i32 s3, s1, 1
	s_cmp_ge_u32 s2, s5
	s_cselect_b32 s6, s3, s1
	s_mul_i32 s1, s6, s0
	s_ashr_i32 s2, s1, 31
	v_add_nc_u32_e32 v5, s1, v1
	s_lshr_b32 s2, s2, 28
	s_add_i32 s2, s1, s2
	s_lshr_b32 s1, s18, 4
	s_ashr_i32 s2, s2, 4
	v_ashrrev_i32_e32 v6, 31, v5
	v_add_nc_u32_e32 v3, s2, v24
	s_mul_i32 s2, s0, s1
	s_ashr_i32 s1, s0, 31
	s_ashr_i32 s3, s2, 31
	v_ashrrev_i32_e32 v4, 31, v3
	s_lshl_b64 s[2:3], s[2:3], 2
	v_lshlrev_b64 v[3:4], 2, v[3:4]
	v_add_co_u32 v3, vcc_lo, s10, v3
	v_add_co_ci_u32_e64 v4, null, s11, v4, vcc_lo
	global_load_dword v7, v[3:4], off
	v_lshlrev_b64 v[3:4], 1, v[5:6]
	v_lshlrev_b64 v[5:6], 2, v[1:2]
	v_cndmask_b32_e64 v2, 0, 1, s20
	s_add_i32 s20, s5, s18
	s_add_u32 s8, s8, s2
	s_addc_u32 s9, s9, s3
	v_add_co_u32 v3, vcc_lo, s12, v3
	v_add_co_ci_u32_e64 v4, null, s13, v4, vcc_lo
	v_add_co_u32 v5, vcc_lo, s8, v5
	v_add_co_ci_u32_e64 v6, null, s9, v6, vcc_lo
	global_load_dwordx2 v[3:4], v[3:4], off
	v_add_co_u32 v5, vcc_lo, v5, 8
	v_add_co_ci_u32_e64 v6, null, 0, v6, vcc_lo
	s_lshl_b64 s[2:3], s[0:1], 2
	s_mov_b32 s1, 0xc000c
	s_mov_b32 s8, 0x300030
	;; [unrolled: 1-line block ×3, first 2 shown]
	s_waitcnt vmcnt(1)
	v_lshrrev_b32_e32 v8, v8, v7
	v_bfe_u32 v27, v7, v26, 2
	v_bfe_u32 v28, v8, 2, 2
	;; [unrolled: 1-line block ×4, first 2 shown]
	s_branch .LBB31_16
.LBB31_15:                              ;   in Loop: Header=BB31_16 Depth=1
	global_load_dwordx4 v[31:34], v[5:6], off offset:-8
	v_add_nc_u32_e32 v7, v27, v2
	v_add_nc_u32_e32 v8, v28, v2
	;; [unrolled: 1-line block ×4, first 2 shown]
	v_mov_b32_e32 v11, s4
	v_cvt_f32_i32_e32 v12, v7
	v_cvt_f32_i32_e32 v13, v8
	v_and_b32_e32 v7, 0x1bff, v7
	v_and_b32_e32 v8, 0x1bff, v8
	v_cvt_f32_i32_e32 v14, v9
	v_and_b32_e32 v9, 0x1bff, v9
	v_cvt_f16_f32_e32 v64, v12
	v_cvt_f16_f32_e32 v65, v13
	v_cvt_f32_i32_e32 v35, v10
	v_and_b32_e32 v39, 0x1bff, v10
	v_mad_u32_u24 v38, v7, s16, 0xe400e400
	v_mad_u32_u24 v37, v8, s16, 0xe400e400
	;; [unrolled: 1-line block ×3, first 2 shown]
	v_sub_f16_e32 v12, 0xdc00, v64
	v_cvt_f16_f32_e32 v14, v14
	v_cvt_f16_f32_e32 v35, v35
	v_mad_u32_u24 v39, v39, s16, 0xe400e400
	s_add_i32 s21, s4, 0x400
	v_mul_u32_u24_sdwa v43, v12, v0 dst_sel:DWORD dst_unused:UNUSED_PAD src0_sel:WORD_0 src1_sel:DWORD
	v_sub_f16_e32 v40, 0xdc00, v14
	v_sub_f16_e32 v48, 0xdc00, v35
	;; [unrolled: 1-line block ×3, first 2 shown]
	v_add_co_u32 v5, vcc_lo, v5, s2
	v_mul_u32_u24_sdwa v41, v40, v0 dst_sel:DWORD dst_unused:UNUSED_PAD src0_sel:WORD_0 src1_sel:DWORD
	v_mul_u32_u24_sdwa v40, v48, v0 dst_sel:DWORD dst_unused:UNUSED_PAD src0_sel:WORD_0 src1_sel:DWORD
	v_add_co_ci_u32_e64 v6, null, s3, v6, vcc_lo
	s_add_i32 s18, s18, 16
	s_waitcnt vmcnt(0)
	v_and_or_b32 v13, v31, s17, 0x64006400
	v_and_or_b32 v44, v31, s1, 0x64006400
	v_and_or_b32 v66, v31, s8, 0x64006400
	v_and_or_b32 v68, v31, s9, 0x64006400
	v_lshrrev_b32_e32 v9, 8, v31
	v_and_or_b32 v31, v32, s17, 0x64006400
	v_and_or_b32 v45, v32, s1, 0x64006400
	v_and_or_b32 v69, v32, s8, 0x64006400
	v_and_or_b32 v70, v32, s9, 0x64006400
	v_lshrrev_b32_e32 v10, 8, v32
	;; [unrolled: 5-line block ×4, first 2 shown]
	v_sub_f16_e32 v34, 0xdc00, v65
	v_pk_add_f16 v31, v37, v31
	v_pk_add_f16 v32, v36, v32
	;; [unrolled: 1-line block ×3, first 2 shown]
	v_pk_fma_f16 v48, 0x3400, v44, v43 op_sel_hi:[0,1,1]
	v_mul_u32_u24_sdwa v42, v34, v0 dst_sel:DWORD dst_unused:UNUSED_PAD src0_sel:WORD_0 src1_sel:DWORD
	v_pk_add_f16 v34, v38, v13
	ds_read2_b32 v[12:13], v11 offset1:1
	v_pk_fma_f16 v58, 0x3400, v46, v41 op_sel_hi:[0,1,1]
	v_pk_fma_f16 v63, 0x3400, v47, v40 op_sel_hi:[0,1,1]
	;; [unrolled: 1-line block ×3, first 2 shown]
	s_waitcnt lgkmcnt(0)
	v_pk_fma_f16 v45, v31, v12, 0
	v_pk_fma_f16 v44, v34, v12, 0
	v_pk_fma_f16 v49, v53, v13, v45
	v_pk_fma_f16 v45, v32, v12, 0
	v_pk_fma_f16 v12, v33, v12, 0
	v_pk_fma_f16 v44, v48, v13, v44
	v_pk_fma_f16 v54, v58, v13, v45
	v_pk_fma_f16 v59, v63, v13, v12
	ds_read2_b32 v[12:13], v11 offset0:64 offset1:65
	s_waitcnt lgkmcnt(0)
	v_pk_fma_f16 v46, v31, v12, 0
	v_pk_fma_f16 v45, v34, v12, 0
	v_pk_fma_f16 v50, v53, v13, v46
	v_pk_fma_f16 v46, v32, v12, 0
	v_pk_fma_f16 v12, v33, v12, 0
	v_pk_fma_f16 v45, v48, v13, v45
	v_pk_fma_f16 v55, v58, v13, v46
	v_pk_fma_f16 v60, v63, v13, v12
	ds_read2_b32 v[12:13], v11 offset0:128 offset1:129
	;; [unrolled: 10-line block ×3, first 2 shown]
	s_waitcnt lgkmcnt(0)
	v_pk_fma_f16 v47, v34, v12, 0
	v_pk_fma_f16 v52, v31, v12, 0
	;; [unrolled: 1-line block ×8, first 2 shown]
	v_mov_b32_e32 v12, s21
	s_add_i32 s21, s4, 0x408
	ds_read2_b32 v[12:13], v12 offset1:1
	s_waitcnt lgkmcnt(0)
	v_pk_fma_f16 v31, v31, v12, 0
	v_pk_fma_f16 v34, v34, v12, 0
	;; [unrolled: 1-line block ×6, first 2 shown]
	v_sub_f16_e32 v32, 0xcc00, v65
	v_pk_fma_f16 v58, v58, v13, v31
	v_pk_fma_f16 v63, v63, v13, v12
	v_sub_f16_e32 v12, 0xd400, v64
	v_sub_f16_e32 v13, 0xcc00, v64
	;; [unrolled: 1-line block ×6, first 2 shown]
	v_mul_u32_u24_sdwa v35, v12, v0 dst_sel:DWORD dst_unused:UNUSED_PAD src0_sel:WORD_0 src1_sel:DWORD
	v_mul_u32_u24_sdwa v33, v31, v0 dst_sel:DWORD dst_unused:UNUSED_PAD src0_sel:WORD_0 src1_sel:DWORD
	v_mul_u32_u24_sdwa v31, v32, v0 dst_sel:DWORD dst_unused:UNUSED_PAD src0_sel:WORD_0 src1_sel:DWORD
	v_mul_u32_u24_sdwa v32, v64, v0 dst_sel:DWORD dst_unused:UNUSED_PAD src0_sel:WORD_0 src1_sel:DWORD
	v_mul_u32_u24_sdwa v14, v14, v0 dst_sel:DWORD dst_unused:UNUSED_PAD src0_sel:WORD_0 src1_sel:DWORD
	v_mul_u32_u24_sdwa v12, v65, v0 dst_sel:DWORD dst_unused:UNUSED_PAD src0_sel:WORD_0 src1_sel:DWORD
	v_mul_u32_u24_sdwa v34, v13, v0 dst_sel:DWORD dst_unused:UNUSED_PAD src0_sel:WORD_0 src1_sel:DWORD
	v_mul_u32_u24_sdwa v13, v67, v0 dst_sel:DWORD dst_unused:UNUSED_PAD src0_sel:WORD_0 src1_sel:DWORD
	v_pk_fma_f16 v67, 0x2c00, v66, v35 op_sel_hi:[0,1,1]
	v_pk_fma_f16 v65, 0x2400, v70, v31 op_sel_hi:[0,1,1]
	v_pk_fma_f16 v70, 0x2c00, v71, v32 op_sel_hi:[0,1,1]
	v_pk_fma_f16 v66, 0x2400, v72, v14 op_sel_hi:[0,1,1]
	v_pk_fma_f16 v71, 0x2c00, v73, v12 op_sel_hi:[0,1,1]
	ds_read2_b32 v[72:73], v11 offset0:2 offset1:3
	v_pk_fma_f16 v69, 0x2c00, v69, v33 op_sel_hi:[0,1,1]
	v_pk_fma_f16 v64, 0x2400, v68, v34 op_sel_hi:[0,1,1]
	;; [unrolled: 1-line block ×3, first 2 shown]
	s_waitcnt lgkmcnt(0)
	v_pk_fma_f16 v44, v67, v72, v44
	v_pk_fma_f16 v49, v69, v72, v49
	;; [unrolled: 1-line block ×8, first 2 shown]
	ds_read2_b32 v[72:73], v11 offset0:66 offset1:67
	s_waitcnt lgkmcnt(0)
	v_pk_fma_f16 v44, v67, v72, v45
	v_pk_fma_f16 v45, v69, v72, v50
	;; [unrolled: 1-line block ×6, first 2 shown]
	ds_read2_b32 v[44:45], v11 offset0:130 offset1:131
	v_pk_fma_f16 v50, v66, v73, v50
	v_pk_fma_f16 v55, v68, v73, v55
	s_waitcnt lgkmcnt(0)
	v_pk_fma_f16 v46, v67, v44, v46
	v_pk_fma_f16 v51, v69, v44, v51
	;; [unrolled: 1-line block ×8, first 2 shown]
	ds_read2_b32 v[44:45], v11 offset0:194 offset1:195
	s_waitcnt lgkmcnt(0)
	v_pk_fma_f16 v47, v67, v44, v47
	v_pk_fma_f16 v52, v69, v44, v52
	;; [unrolled: 1-line block ×8, first 2 shown]
	v_mov_b32_e32 v44, s21
	s_add_i32 s21, s4, 0x410
	ds_read2_b32 v[44:45], v44 offset1:1
	s_waitcnt lgkmcnt(0)
	v_pk_fma_f16 v48, v67, v44, v48
	v_pk_fma_f16 v52, v69, v44, v53
	;; [unrolled: 1-line block ×8, first 2 shown]
	v_and_or_b32 v45, v9, s17, 0x64006400
	v_pk_add_f16 v45, v38, v45
	v_and_or_b32 v38, v9, s1, 0x64006400
	v_pk_fma_f16 v43, 0x3400, v38, v43 op_sel_hi:[0,1,1]
	v_and_or_b32 v38, v10, s17, 0x64006400
	v_pk_add_f16 v64, v37, v38
	v_and_or_b32 v37, v10, s1, 0x64006400
	v_pk_fma_f16 v42, 0x3400, v37, v42 op_sel_hi:[0,1,1]
	;; [unrolled: 4-line block ×4, first 2 shown]
	ds_read2_b32 v[36:37], v11 offset0:4 offset1:5
	s_waitcnt lgkmcnt(0)
	v_pk_fma_f16 v38, v45, v36, v74
	v_pk_fma_f16 v39, v64, v36, v49
	v_pk_fma_f16 v40, v65, v36, v54
	v_pk_fma_f16 v36, v66, v36, v59
	v_pk_fma_f16 v59, v43, v37, v38
	v_pk_fma_f16 v68, v42, v37, v39
	v_pk_fma_f16 v69, v41, v37, v40
	v_pk_fma_f16 v70, v67, v37, v36
	ds_read2_b32 v[36:37], v11 offset0:68 offset1:69
	s_waitcnt lgkmcnt(0)
	v_pk_fma_f16 v38, v45, v36, v60
	v_pk_fma_f16 v39, v64, v36, v72
	v_pk_fma_f16 v40, v65, v36, v50
	v_pk_fma_f16 v36, v66, v36, v55
	v_pk_fma_f16 v60, v43, v37, v38
	v_pk_fma_f16 v48, v42, v37, v39
	v_pk_fma_f16 v50, v41, v37, v40
	v_pk_fma_f16 v36, v67, v37, v36
	;; [unrolled: 10-line block ×4, first 2 shown]
	v_mov_b32_e32 v39, s21
	s_add_i32 s21, s4, 0x418
	s_add_i32 s4, s4, 32
	s_cmp_ge_i32 s18, s19
	ds_read2_b32 v[39:40], v39 offset1:1
	s_waitcnt lgkmcnt(0)
	v_pk_fma_f16 v45, v45, v39, v58
	v_pk_fma_f16 v46, v64, v39, v63
	;; [unrolled: 1-line block ×8, first 2 shown]
	v_and_or_b32 v40, v9, s8, 0x64006400
	v_and_or_b32 v9, v9, s9, 0x64006400
	v_pk_fma_f16 v53, 0x2c00, v40, v35 op_sel_hi:[0,1,1]
	v_pk_fma_f16 v34, 0x2400, v9, v34 op_sel_hi:[0,1,1]
	v_and_or_b32 v9, v10, s8, 0x64006400
	v_and_or_b32 v10, v10, s9, 0x64006400
	v_pk_fma_f16 v58, 0x2c00, v9, v33 op_sel_hi:[0,1,1]
	v_and_or_b32 v9, v7, s8, 0x64006400
	v_pk_fma_f16 v31, 0x2400, v10, v31 op_sel_hi:[0,1,1]
	;; [unrolled: 2-line block ×3, first 2 shown]
	ds_read2_b32 v[9:10], v11 offset0:6 offset1:7
	v_pk_fma_f16 v32, 0x2400, v7, v14 op_sel_hi:[0,1,1]
	v_and_or_b32 v7, v8, s8, 0x64006400
	v_and_or_b32 v8, v8, s9, 0x64006400
	v_pk_fma_f16 v43, 0x2c00, v7, v12 op_sel_hi:[0,1,1]
	v_pk_fma_f16 v33, 0x2400, v8, v13 op_sel_hi:[0,1,1]
	ds_read2_b32 v[7:8], v11 offset0:70 offset1:71
	s_waitcnt lgkmcnt(1)
	v_pk_fma_f16 v13, v58, v9, v68
	v_pk_fma_f16 v12, v53, v9, v59
	;; [unrolled: 1-line block ×5, first 2 shown]
	v_mov_b32_e32 v13, s21
	v_pk_fma_f16 v41, v34, v10, v12
	v_pk_fma_f16 v35, v32, v10, v14
	;; [unrolled: 1-line block ×3, first 2 shown]
	ds_read2_b32 v[9:10], v11 offset0:134 offset1:135
	ds_read2_b32 v[13:14], v13 offset1:1
	ds_read2_b32 v[11:12], v11 offset0:198 offset1:199
	s_waitcnt lgkmcnt(3)
	v_pk_fma_f16 v45, v53, v7, v60
	s_waitcnt lgkmcnt(2)
	v_pk_fma_f16 v44, v53, v9, v51
	;; [unrolled: 2-line block ×4, first 2 shown]
	v_pk_fma_f16 v53, v58, v7, v48
	v_pk_fma_f16 v51, v58, v9, v49
	;; [unrolled: 1-line block ×28, first 2 shown]
	v_pack_b32_f16 v14, v41, v42
	v_perm_b32 v33, v42, v41, 0x7060302
	v_pack_b32_f16 v34, v36, v37
	v_perm_b32 v36, v37, v36, 0x7060302
	;; [unrolled: 2-line block ×10, first 2 shown]
	v_pk_add_f16 v14, v14, v33
	v_pk_add_f16 v32, v34, v36
	;; [unrolled: 1-line block ×10, first 2 shown]
	v_pk_fma_f16 v25, v14, v3, v25
	v_pk_fma_f16 v22, v32, v3, v22
	;; [unrolled: 1-line block ×10, first 2 shown]
	s_cbranch_scc1 .LBB31_18
.LBB31_16:                              ; =>This Inner Loop Header: Depth=1
	s_cmp_lg_u32 s18, s20
	s_cbranch_scc1 .LBB31_15
; %bb.17:                               ;   in Loop: Header=BB31_16 Depth=1
	s_add_i32 s6, s6, 1
	s_add_i32 s20, s20, s5
	s_mul_i32 s21, s6, s0
	s_ashr_i32 s22, s21, 31
	v_add_nc_u32_e32 v7, s21, v1
	s_lshr_b32 s22, s22, 28
	s_add_i32 s22, s21, s22
	v_ashrrev_i32_e32 v8, 31, v7
	s_ashr_i32 s22, s22, 4
	s_waitcnt vmcnt(0)
	v_add_nc_u32_e32 v3, s22, v24
	v_lshlrev_b64 v[7:8], 1, v[7:8]
	v_ashrrev_i32_e32 v4, 31, v3
	v_lshlrev_b64 v[3:4], 2, v[3:4]
	v_add_co_u32 v3, vcc_lo, s10, v3
	v_add_co_ci_u32_e64 v4, null, s11, v4, vcc_lo
	global_load_dword v9, v[3:4], off
	v_add_co_u32 v3, vcc_lo, s12, v7
	v_add_co_ci_u32_e64 v4, null, s13, v8, vcc_lo
	global_load_dwordx2 v[3:4], v[3:4], off
	s_waitcnt vmcnt(1)
	v_lshrrev_b32_e32 v7, v26, v9
	v_bfe_u32 v27, v9, v26, 2
	v_bfe_u32 v28, v7, 2, 2
	v_bfe_u32 v29, v7, 4, 2
	v_bfe_u32 v30, v7, 6, 2
	s_branch .LBB31_15
.LBB31_18:
	v_mad_u64_u32 v[0:1], null, s7, s0, v[1:2]
	s_mov_b32 s1, 0
	v_ashrrev_i32_e32 v1, 31, v0
	v_lshlrev_b64 v[1:2], 1, v[0:1]
	v_add_co_u32 v1, vcc_lo, s14, v1
	v_add_co_ci_u32_e64 v2, null, s15, v2, vcc_lo
	global_load_dword v4, v[1:2], off
.LBB31_19:                              ; =>This Inner Loop Header: Depth=1
	s_waitcnt vmcnt(0)
	v_pk_add_f16 v3, v25, v4
	global_atomic_cmpswap v3, v[1:2], v[3:4], off glc
	s_waitcnt vmcnt(0)
	v_cmp_eq_u32_e32 vcc_lo, v4, v3
	v_mov_b32_e32 v4, v3
	s_or_b32 s1, vcc_lo, s1
	s_andn2_b32 exec_lo, exec_lo, s1
	s_cbranch_execnz .LBB31_19
; %bb.20:
	s_or_b32 exec_lo, exec_lo, s1
	global_load_dword v4, v[1:2], off offset:4
	s_mov_b32 s1, 0
.LBB31_21:                              ; =>This Inner Loop Header: Depth=1
	s_waitcnt vmcnt(0)
	v_pk_add_f16 v3, v23, v4
	global_atomic_cmpswap v3, v[1:2], v[3:4], off offset:4 glc
	s_waitcnt vmcnt(0)
	v_cmp_eq_u32_e32 vcc_lo, v4, v3
	v_mov_b32_e32 v4, v3
	s_or_b32 s1, vcc_lo, s1
	s_andn2_b32 exec_lo, exec_lo, s1
	s_cbranch_execnz .LBB31_21
; %bb.22:
	s_or_b32 exec_lo, exec_lo, s1
	v_add_nc_u32_e32 v0, s0, v0
	s_mov_b32 s1, 0
	v_ashrrev_i32_e32 v1, 31, v0
	v_lshlrev_b64 v[1:2], 1, v[0:1]
	v_add_co_u32 v1, vcc_lo, s14, v1
	v_add_co_ci_u32_e64 v2, null, s15, v2, vcc_lo
	global_load_dword v4, v[1:2], off
.LBB31_23:                              ; =>This Inner Loop Header: Depth=1
	s_waitcnt vmcnt(0)
	v_pk_add_f16 v3, v22, v4
	global_atomic_cmpswap v3, v[1:2], v[3:4], off glc
	s_waitcnt vmcnt(0)
	v_cmp_eq_u32_e32 vcc_lo, v4, v3
	v_mov_b32_e32 v4, v3
	s_or_b32 s1, vcc_lo, s1
	s_andn2_b32 exec_lo, exec_lo, s1
	s_cbranch_execnz .LBB31_23
; %bb.24:
	s_or_b32 exec_lo, exec_lo, s1
	global_load_dword v4, v[1:2], off offset:4
	s_mov_b32 s1, 0
.LBB31_25:                              ; =>This Inner Loop Header: Depth=1
	s_waitcnt vmcnt(0)
	v_pk_add_f16 v3, v21, v4
	global_atomic_cmpswap v3, v[1:2], v[3:4], off offset:4 glc
	s_waitcnt vmcnt(0)
	v_cmp_eq_u32_e32 vcc_lo, v4, v3
	v_mov_b32_e32 v4, v3
	s_or_b32 s1, vcc_lo, s1
	s_andn2_b32 exec_lo, exec_lo, s1
	s_cbranch_execnz .LBB31_25
; %bb.26:
	s_or_b32 exec_lo, exec_lo, s1
	v_add_nc_u32_e32 v0, s0, v0
	;; [unrolled: 33-line block ×4, first 2 shown]
	s_mov_b32 s0, 0
	v_ashrrev_i32_e32 v1, 31, v0
	v_lshlrev_b64 v[0:1], 1, v[0:1]
	v_add_co_u32 v0, vcc_lo, s14, v0
	v_add_co_ci_u32_e64 v1, null, s15, v1, vcc_lo
	global_load_dword v3, v[0:1], off
.LBB31_35:                              ; =>This Inner Loop Header: Depth=1
	s_waitcnt vmcnt(0)
	v_pk_add_f16 v2, v16, v3
	global_atomic_cmpswap v2, v[0:1], v[2:3], off glc
	s_waitcnt vmcnt(0)
	v_cmp_eq_u32_e32 vcc_lo, v3, v2
	v_mov_b32_e32 v3, v2
	s_or_b32 s0, vcc_lo, s0
	s_andn2_b32 exec_lo, exec_lo, s0
	s_cbranch_execnz .LBB31_35
; %bb.36:
	s_or_b32 exec_lo, exec_lo, s0
	global_load_dword v3, v[0:1], off offset:4
	s_mov_b32 s0, 0
.LBB31_37:                              ; =>This Inner Loop Header: Depth=1
	s_waitcnt vmcnt(0)
	v_pk_add_f16 v2, v15, v3
	global_atomic_cmpswap v2, v[0:1], v[2:3], off offset:4 glc
	s_waitcnt vmcnt(0)
	v_cmp_eq_u32_e32 vcc_lo, v3, v2
	v_mov_b32_e32 v3, v2
	s_or_b32 s0, vcc_lo, s0
	s_andn2_b32 exec_lo, exec_lo, s0
	s_cbranch_execnz .LBB31_37
.LBB31_38:
	s_endpgm
	.section	.rodata,"a",@progbits
	.p2align	6, 0x0
	.amdhsa_kernel _ZN4vllm4gptq33gemm_half_q_half_gptq_2bit_kernelILb1ELi5EEEvPK6__halfPKjS6_S4_PS2_iiiibPKi
		.amdhsa_group_segment_fixed_size 1280
		.amdhsa_private_segment_fixed_size 0
		.amdhsa_kernarg_size 72
		.amdhsa_user_sgpr_count 6
		.amdhsa_user_sgpr_private_segment_buffer 1
		.amdhsa_user_sgpr_dispatch_ptr 0
		.amdhsa_user_sgpr_queue_ptr 0
		.amdhsa_user_sgpr_kernarg_segment_ptr 1
		.amdhsa_user_sgpr_dispatch_id 0
		.amdhsa_user_sgpr_flat_scratch_init 0
		.amdhsa_user_sgpr_private_segment_size 0
		.amdhsa_wavefront_size32 1
		.amdhsa_uses_dynamic_stack 0
		.amdhsa_system_sgpr_private_segment_wavefront_offset 0
		.amdhsa_system_sgpr_workgroup_id_x 1
		.amdhsa_system_sgpr_workgroup_id_y 1
		.amdhsa_system_sgpr_workgroup_id_z 1
		.amdhsa_system_sgpr_workgroup_info 0
		.amdhsa_system_vgpr_workitem_id 0
		.amdhsa_next_free_vgpr 75
		.amdhsa_next_free_sgpr 24
		.amdhsa_reserve_vcc 1
		.amdhsa_reserve_flat_scratch 0
		.amdhsa_float_round_mode_32 0
		.amdhsa_float_round_mode_16_64 0
		.amdhsa_float_denorm_mode_32 3
		.amdhsa_float_denorm_mode_16_64 3
		.amdhsa_dx10_clamp 1
		.amdhsa_ieee_mode 1
		.amdhsa_fp16_overflow 0
		.amdhsa_workgroup_processor_mode 1
		.amdhsa_memory_ordered 1
		.amdhsa_forward_progress 1
		.amdhsa_shared_vgpr_count 0
		.amdhsa_exception_fp_ieee_invalid_op 0
		.amdhsa_exception_fp_denorm_src 0
		.amdhsa_exception_fp_ieee_div_zero 0
		.amdhsa_exception_fp_ieee_overflow 0
		.amdhsa_exception_fp_ieee_underflow 0
		.amdhsa_exception_fp_ieee_inexact 0
		.amdhsa_exception_int_div_zero 0
	.end_amdhsa_kernel
	.section	.text._ZN4vllm4gptq33gemm_half_q_half_gptq_2bit_kernelILb1ELi5EEEvPK6__halfPKjS6_S4_PS2_iiiibPKi,"axG",@progbits,_ZN4vllm4gptq33gemm_half_q_half_gptq_2bit_kernelILb1ELi5EEEvPK6__halfPKjS6_S4_PS2_iiiibPKi,comdat
.Lfunc_end31:
	.size	_ZN4vllm4gptq33gemm_half_q_half_gptq_2bit_kernelILb1ELi5EEEvPK6__halfPKjS6_S4_PS2_iiiibPKi, .Lfunc_end31-_ZN4vllm4gptq33gemm_half_q_half_gptq_2bit_kernelILb1ELi5EEEvPK6__halfPKjS6_S4_PS2_iiiibPKi
                                        ; -- End function
	.set _ZN4vllm4gptq33gemm_half_q_half_gptq_2bit_kernelILb1ELi5EEEvPK6__halfPKjS6_S4_PS2_iiiibPKi.num_vgpr, 75
	.set _ZN4vllm4gptq33gemm_half_q_half_gptq_2bit_kernelILb1ELi5EEEvPK6__halfPKjS6_S4_PS2_iiiibPKi.num_agpr, 0
	.set _ZN4vllm4gptq33gemm_half_q_half_gptq_2bit_kernelILb1ELi5EEEvPK6__halfPKjS6_S4_PS2_iiiibPKi.numbered_sgpr, 24
	.set _ZN4vllm4gptq33gemm_half_q_half_gptq_2bit_kernelILb1ELi5EEEvPK6__halfPKjS6_S4_PS2_iiiibPKi.num_named_barrier, 0
	.set _ZN4vllm4gptq33gemm_half_q_half_gptq_2bit_kernelILb1ELi5EEEvPK6__halfPKjS6_S4_PS2_iiiibPKi.private_seg_size, 0
	.set _ZN4vllm4gptq33gemm_half_q_half_gptq_2bit_kernelILb1ELi5EEEvPK6__halfPKjS6_S4_PS2_iiiibPKi.uses_vcc, 1
	.set _ZN4vllm4gptq33gemm_half_q_half_gptq_2bit_kernelILb1ELi5EEEvPK6__halfPKjS6_S4_PS2_iiiibPKi.uses_flat_scratch, 0
	.set _ZN4vllm4gptq33gemm_half_q_half_gptq_2bit_kernelILb1ELi5EEEvPK6__halfPKjS6_S4_PS2_iiiibPKi.has_dyn_sized_stack, 0
	.set _ZN4vllm4gptq33gemm_half_q_half_gptq_2bit_kernelILb1ELi5EEEvPK6__halfPKjS6_S4_PS2_iiiibPKi.has_recursion, 0
	.set _ZN4vllm4gptq33gemm_half_q_half_gptq_2bit_kernelILb1ELi5EEEvPK6__halfPKjS6_S4_PS2_iiiibPKi.has_indirect_call, 0
	.section	.AMDGPU.csdata,"",@progbits
; Kernel info:
; codeLenInByte = 5248
; TotalNumSgprs: 26
; NumVgprs: 75
; ScratchSize: 0
; MemoryBound: 0
; FloatMode: 240
; IeeeMode: 1
; LDSByteSize: 1280 bytes/workgroup (compile time only)
; SGPRBlocks: 0
; VGPRBlocks: 9
; NumSGPRsForWavesPerEU: 26
; NumVGPRsForWavesPerEU: 75
; Occupancy: 12
; WaveLimiterHint : 0
; COMPUTE_PGM_RSRC2:SCRATCH_EN: 0
; COMPUTE_PGM_RSRC2:USER_SGPR: 6
; COMPUTE_PGM_RSRC2:TRAP_HANDLER: 0
; COMPUTE_PGM_RSRC2:TGID_X_EN: 1
; COMPUTE_PGM_RSRC2:TGID_Y_EN: 1
; COMPUTE_PGM_RSRC2:TGID_Z_EN: 1
; COMPUTE_PGM_RSRC2:TIDIG_COMP_CNT: 0
	.section	.text._ZN4vllm4gptq33gemm_half_q_half_gptq_3bit_kernelILb1ELi5EEEvPK6__halfPKjS6_S4_PS2_iiiibPKi,"axG",@progbits,_ZN4vllm4gptq33gemm_half_q_half_gptq_3bit_kernelILb1ELi5EEEvPK6__halfPKjS6_S4_PS2_iiiibPKi,comdat
	.protected	_ZN4vllm4gptq33gemm_half_q_half_gptq_3bit_kernelILb1ELi5EEEvPK6__halfPKjS6_S4_PS2_iiiibPKi ; -- Begin function _ZN4vllm4gptq33gemm_half_q_half_gptq_3bit_kernelILb1ELi5EEEvPK6__halfPKjS6_S4_PS2_iiiibPKi
	.globl	_ZN4vllm4gptq33gemm_half_q_half_gptq_3bit_kernelILb1ELi5EEEvPK6__halfPKjS6_S4_PS2_iiiibPKi
	.p2align	8
	.type	_ZN4vllm4gptq33gemm_half_q_half_gptq_3bit_kernelILb1ELi5EEEvPK6__halfPKjS6_S4_PS2_iiiibPKi,@function
_ZN4vllm4gptq33gemm_half_q_half_gptq_3bit_kernelILb1ELi5EEEvPK6__halfPKjS6_S4_PS2_iiiibPKi: ; @_ZN4vllm4gptq33gemm_half_q_half_gptq_3bit_kernelILb1ELi5EEEvPK6__halfPKjS6_S4_PS2_iiiibPKi
; %bb.0:
	s_load_dwordx4 s[16:19], s[4:5], 0x2c
	s_lshl_b32 s20, s8, 7
	s_load_dwordx8 s[8:15], s[4:5], 0x8
	s_add_i32 s0, s20, 0x80
	s_mul_i32 s7, s7, 5
	v_cvt_f64_u32_e32 v[1:2], s0
	s_mov_b32 s22, exec_lo
	s_waitcnt lgkmcnt(0)
	v_cvt_f64_i32_e32 v[3:4], s17
	v_min_f64 v[1:2], v[1:2], v[3:4]
	v_cvt_i32_f64_e32 v2, v[1:2]
	v_add_nc_u32_e32 v1, s20, v0
	v_readfirstlane_b32 s21, v2
	v_cmpx_lt_u32_e64 v1, v2
	s_cbranch_execz .LBB32_12
; %bb.1:
	s_clause 0x1
	s_load_dwordx2 s[2:3], s[4:5], 0x40
	s_load_dwordx2 s[0:1], s[4:5], 0x0
	v_mov_b32_e32 v2, 0
	v_lshlrev_b64 v[3:4], 2, v[1:2]
	v_mov_b32_e32 v6, v2
	v_mov_b32_e32 v5, v1
	s_waitcnt lgkmcnt(0)
	v_add_co_u32 v3, vcc_lo, s2, v3
	v_add_co_ci_u32_e64 v4, null, s3, v4, vcc_lo
	s_cmp_lg_u64 s[2:3], 0
	s_cselect_b32 s4, -1, 0
	s_cmp_eq_u64 s[2:3], 0
	s_cbranch_scc1 .LBB32_3
; %bb.2:
	global_load_dword v5, v[3:4], off
	s_waitcnt vmcnt(0)
	v_ashrrev_i32_e32 v6, 31, v5
.LBB32_3:
	s_mul_i32 s2, s7, s17
	v_lshlrev_b64 v[5:6], 1, v[5:6]
	s_ashr_i32 s3, s2, 31
	v_cndmask_b32_e64 v8, 0, 1, s4
	s_lshl_b64 s[24:25], s[2:3], 1
	v_lshlrev_b32_e32 v7, 1, v0
	s_add_u32 s3, s0, s24
	s_addc_u32 s5, s1, s25
	v_add_co_u32 v5, vcc_lo, s3, v5
	v_add_co_ci_u32_e64 v6, null, s5, v6, vcc_lo
	s_andn2_b32 vcc_lo, exec_lo, s4
	global_load_ushort v9, v[5:6], off
	v_mov_b32_e32 v6, v2
	v_mov_b32_e32 v5, v1
	s_waitcnt vmcnt(0)
	ds_write_b16 v7, v9
	s_cbranch_vccnz .LBB32_5
; %bb.4:
	global_load_dword v5, v[3:4], off
	s_waitcnt vmcnt(0)
	v_ashrrev_i32_e32 v6, 31, v5
.LBB32_5:
	s_add_i32 s2, s2, s17
	v_lshlrev_b64 v[5:6], 1, v[5:6]
	s_ashr_i32 s3, s2, 31
	s_lshl_b64 s[4:5], s[2:3], 1
	s_add_u32 s3, s0, s4
	s_addc_u32 s4, s1, s5
	v_add_co_u32 v5, vcc_lo, s3, v5
	v_add_co_ci_u32_e64 v6, null, s4, v6, vcc_lo
	v_cmp_ne_u32_e32 vcc_lo, 1, v8
	global_load_ushort v9, v[5:6], off
	v_mov_b32_e32 v6, v2
	v_mov_b32_e32 v5, v1
	s_waitcnt vmcnt(0)
	ds_write_b16 v7, v9 offset:256
	s_cbranch_vccnz .LBB32_7
; %bb.6:
	global_load_dword v5, v[3:4], off
	s_waitcnt vmcnt(0)
	v_ashrrev_i32_e32 v6, 31, v5
.LBB32_7:
	s_add_i32 s2, s2, s17
	v_lshlrev_b64 v[5:6], 1, v[5:6]
	s_ashr_i32 s3, s2, 31
	s_lshl_b64 s[4:5], s[2:3], 1
	s_add_u32 s3, s0, s4
	s_addc_u32 s4, s1, s5
	v_add_co_u32 v5, vcc_lo, s3, v5
	v_add_co_ci_u32_e64 v6, null, s4, v6, vcc_lo
	v_cmp_ne_u32_e32 vcc_lo, 1, v8
	global_load_ushort v9, v[5:6], off
	v_mov_b32_e32 v6, v2
	v_mov_b32_e32 v5, v1
	s_waitcnt vmcnt(0)
	ds_write_b16 v7, v9 offset:512
	s_cbranch_vccnz .LBB32_9
; %bb.8:
	global_load_dword v5, v[3:4], off
	s_waitcnt vmcnt(0)
	v_ashrrev_i32_e32 v6, 31, v5
.LBB32_9:
	s_add_i32 s2, s2, s17
	v_lshlrev_b64 v[5:6], 1, v[5:6]
	s_ashr_i32 s3, s2, 31
	s_lshl_b64 s[4:5], s[2:3], 1
	s_add_u32 s3, s0, s4
	s_addc_u32 s4, s1, s5
	v_add_co_u32 v5, vcc_lo, s3, v5
	v_add_co_ci_u32_e64 v6, null, s4, v6, vcc_lo
	v_cmp_ne_u32_e32 vcc_lo, 1, v8
	global_load_ushort v5, v[5:6], off
	s_waitcnt vmcnt(0)
	ds_write_b16 v7, v5 offset:768
	s_cbranch_vccnz .LBB32_11
; %bb.10:
	global_load_dword v1, v[3:4], off
	s_waitcnt vmcnt(0)
	v_ashrrev_i32_e32 v2, 31, v1
.LBB32_11:
	s_add_i32 s2, s2, s17
	v_lshlrev_b64 v[1:2], 1, v[1:2]
	s_ashr_i32 s3, s2, 31
	s_lshl_b64 s[2:3], s[2:3], 1
	s_add_u32 s0, s0, s2
	s_addc_u32 s1, s1, s3
	v_add_co_u32 v1, vcc_lo, s0, v1
	v_add_co_ci_u32_e64 v2, null, s1, v2, vcc_lo
	global_load_ushort v1, v[1:2], off
	s_waitcnt vmcnt(0)
	ds_write_b16 v7, v1 offset:1024
.LBB32_12:
	s_or_b32 exec_lo, exec_lo, s22
	v_lshlrev_b32_e32 v0, 2, v0
	s_mov_b32 s0, exec_lo
	v_lshl_add_u32 v4, s6, 9, v0
	v_cmpx_gt_i32_e64 s16, v4
	s_cbranch_execz .LBB32_70
; %bb.13:
	s_abs_i32 s0, s18
	s_abs_i32 s3, s17
	v_cvt_f32_u32_e32 v1, s0
	s_sub_i32 s2, 0, s0
	v_and_b32_e32 v2, 28, v0
	s_waitcnt lgkmcnt(0)
	s_barrier
	v_rcp_iflag_f32_e32 v1, v1
	buffer_gl0_inv
	v_cmp_lt_u32_e32 vcc_lo, 4, v2
                                        ; implicit-def: $vgpr3
                                        ; implicit-def: $vgpr0
	v_mul_f32_e32 v1, 0x4f7ffffe, v1
	v_cvt_u32_f32_e32 v1, v1
	v_readfirstlane_b32 s1, v1
	s_mul_i32 s2, s2, s1
	s_mul_hi_u32 s2, s1, s2
	s_add_i32 s1, s1, s2
	s_xor_b32 s2, s17, s18
	s_mul_hi_u32 s1, s3, s1
	s_ashr_i32 s2, s2, 31
	s_mul_i32 s4, s1, s0
	s_sub_i32 s3, s3, s4
	s_add_i32 s4, s1, 1
	s_sub_i32 s5, s3, s0
	s_cmp_ge_u32 s3, s0
	s_cselect_b32 s1, s4, s1
	s_cselect_b32 s3, s5, s3
	s_add_i32 s4, s1, 1
	s_cmp_ge_u32 s3, s0
	s_cselect_b32 s0, s4, s1
	s_xor_b32 s0, s0, s2
	s_sub_i32 s6, s0, s2
	v_cvt_f32_u32_e32 v1, s6
	s_sub_i32 s1, 0, s6
	v_rcp_iflag_f32_e32 v1, v1
	v_mul_f32_e32 v1, 0x4f7ffffe, v1
	v_cvt_u32_f32_e32 v1, v1
	v_readfirstlane_b32 s0, v1
	s_mul_i32 s1, s1, s0
	s_mul_hi_u32 s1, s0, s1
	s_add_i32 s0, s0, s1
	s_mul_hi_u32 s0, s20, s0
	s_mul_i32 s1, s0, s6
	s_add_i32 s2, s0, 1
	s_sub_i32 s1, s20, s1
	s_sub_i32 s3, s1, s6
	s_cmp_ge_u32 s1, s6
	s_cselect_b32 s0, s2, s0
	s_cselect_b32 s1, s3, s1
	s_add_i32 s2, s0, 1
	s_cmp_ge_u32 s1, s6
	s_cselect_b32 s18, s2, s0
	s_and_saveexec_b32 s0, vcc_lo
	s_xor_b32 s1, exec_lo, s0
	s_cbranch_execz .LBB32_27
; %bb.14:
	s_mov_b32 s2, exec_lo
                                        ; implicit-def: $vgpr3
                                        ; implicit-def: $vgpr0
	v_cmpx_ne_u32_e32 8, v2
	s_xor_b32 s2, exec_lo, s2
	s_cbranch_execz .LBB32_24
; %bb.15:
	s_mov_b32 s3, exec_lo
                                        ; implicit-def: $vgpr3
                                        ; implicit-def: $vgpr0
	v_cmpx_lt_u32_e32 16, v2
	s_xor_b32 s3, exec_lo, s3
	s_cbranch_execz .LBB32_21
; %bb.16:
	v_lshl_add_u32 v0, v4, 1, v4
	s_mul_i32 s4, s18, s16
                                        ; implicit-def: $vgpr3
	s_ashr_i32 s0, s4, 31
	s_lshr_b32 s0, s0, 27
	v_ashrrev_i32_e32 v1, 31, v0
	s_add_i32 s0, s4, s0
	s_ashr_i32 s0, s0, 5
	v_lshrrev_b32_e32 v1, 27, v1
	v_add_nc_u32_e32 v0, v0, v1
	v_ashrrev_i32_e32 v0, 5, v0
	v_mad_u64_u32 v[0:1], null, s0, 3, v[0:1]
	v_ashrrev_i32_e32 v1, 31, v0
	v_lshlrev_b64 v[0:1], 2, v[0:1]
	v_add_co_u32 v0, s0, s10, v0
	v_add_co_ci_u32_e64 v1, null, s11, v1, s0
	v_cmp_ne_u32_e64 s0, 20, v2
	global_load_dword v5, v[0:1], off
	s_and_saveexec_b32 s5, s0
	s_xor_b32 s0, exec_lo, s5
	s_cbranch_execz .LBB32_18
; %bb.17:
	v_mad_u32_u24 v0, v2, 3, 0xffffffc0
	s_waitcnt vmcnt(0)
	v_lshrrev_b32_e32 v3, v0, v5
                                        ; implicit-def: $vgpr0_vgpr1
                                        ; implicit-def: $vgpr5
.LBB32_18:
	s_andn2_saveexec_b32 s0, s0
	s_cbranch_execz .LBB32_20
; %bb.19:
	global_load_dword v0, v[0:1], off offset:4
	s_waitcnt vmcnt(0)
	v_alignbit_b32 v0, v0, v5, 28
	v_and_b32_e32 v3, 0xfff, v0
.LBB32_20:
	s_or_b32 exec_lo, exec_lo, s0
	v_mov_b32_e32 v0, s4
.LBB32_21:
	s_andn2_saveexec_b32 s3, s3
	s_cbranch_execz .LBB32_23
; %bb.22:
	v_lshl_add_u32 v0, v4, 1, v4
	s_mul_i32 s4, s18, s16
	s_ashr_i32 s0, s4, 31
	s_lshr_b32 s0, s0, 27
	v_ashrrev_i32_e32 v1, 31, v0
	s_add_i32 s0, s4, s0
	s_ashr_i32 s0, s0, 5
	v_lshrrev_b32_e32 v1, 27, v1
	v_add_nc_u32_e32 v0, v0, v1
	v_ashrrev_i32_e32 v0, 5, v0
	v_mad_u64_u32 v[0:1], null, s0, 3, v[0:1]
	v_ashrrev_i32_e32 v1, 31, v0
	v_lshlrev_b64 v[0:1], 2, v[0:1]
	v_add_co_u32 v0, s0, s10, v0
	v_add_co_ci_u32_e64 v1, null, s11, v1, s0
	global_load_dword v0, v[0:1], off
	v_mad_u32_u24 v1, v2, 3, 0xffffffe0
	s_waitcnt vmcnt(0)
	v_lshrrev_b32_e32 v3, v1, v0
	v_mov_b32_e32 v0, s4
.LBB32_23:
	s_or_b32 exec_lo, exec_lo, s3
.LBB32_24:
	s_andn2_saveexec_b32 s2, s2
	s_cbranch_execz .LBB32_26
; %bb.25:
	v_lshl_add_u32 v0, v4, 1, v4
	s_mul_i32 s3, s18, s16
	s_ashr_i32 s0, s3, 31
	s_lshr_b32 s0, s0, 27
	v_ashrrev_i32_e32 v1, 31, v0
	s_add_i32 s0, s3, s0
	s_ashr_i32 s0, s0, 5
	v_lshrrev_b32_e32 v1, 27, v1
	v_add_nc_u32_e32 v0, v0, v1
	v_ashrrev_i32_e32 v0, 5, v0
	v_mad_u64_u32 v[0:1], null, s0, 3, v[0:1]
	v_ashrrev_i32_e32 v1, 31, v0
	v_lshlrev_b64 v[0:1], 2, v[0:1]
	v_add_co_u32 v0, s0, s10, v0
	v_add_co_ci_u32_e64 v1, null, s11, v1, s0
	global_load_dwordx2 v[0:1], v[0:1], off
	s_waitcnt vmcnt(0)
	v_perm_b32 v0, v0, v1, 0x2010007
	v_and_b32_e32 v3, 0xfff, v0
	v_mov_b32_e32 v0, s3
.LBB32_26:
	s_or_b32 exec_lo, exec_lo, s2
.LBB32_27:
	s_or_saveexec_b32 s1, s1
	v_lshl_add_u32 v1, v4, 1, v4
	v_mul_u32_u24_e32 v16, 3, v2
	v_ashrrev_i32_e32 v6, 31, v1
	s_xor_b32 exec_lo, exec_lo, s1
	s_cbranch_execz .LBB32_29
; %bb.28:
	v_lshrrev_b32_e32 v0, 27, v6
	s_mul_i32 s2, s18, s16
	s_ashr_i32 s0, s2, 31
	s_lshr_b32 s0, s0, 27
	v_add_nc_u32_e32 v0, v1, v0
	s_add_i32 s0, s2, s0
	s_ashr_i32 s0, s0, 5
	v_ashrrev_i32_e32 v0, 5, v0
	v_mad_u64_u32 v[7:8], null, s0, 3, v[0:1]
	v_ashrrev_i32_e32 v8, 31, v7
	v_lshlrev_b64 v[7:8], 2, v[7:8]
	v_add_co_u32 v7, s0, s10, v7
	v_add_co_ci_u32_e64 v8, null, s11, v8, s0
	global_load_dword v0, v[7:8], off
	s_waitcnt vmcnt(0)
	v_lshrrev_b32_e32 v3, v16, v0
	v_mov_b32_e32 v0, s2
.LBB32_29:
	s_or_b32 exec_lo, exec_lo, s1
	v_mov_b32_e32 v20, 0
	v_mov_b32_e32 v19, 0
	;; [unrolled: 1-line block ×9, first 2 shown]
	s_waitcnt vmcnt(0)
	v_mov_b32_e32 v5, 0
	s_cmp_ge_i32 s20, s21
	s_mov_b32 s22, 0
	s_cbranch_scc1 .LBB32_50
; %bb.30:
	v_add_nc_u32_e32 v7, v0, v4
	v_lshrrev_b32_e32 v0, 27, v6
	v_ashrrev_i32_e32 v5, 31, v4
	s_add_i32 s23, s6, s20
	v_bfe_u32 v25, v3, 9, 3
	v_ashrrev_i32_e32 v8, 31, v7
	v_add_nc_u32_e32 v0, v1, v0
	v_bfe_u32 v26, v3, 6, 3
	v_bfe_u32 v27, v3, 3, 3
	v_and_b32_e32 v28, 7, v3
	v_lshlrev_b64 v[7:8], 1, v[7:8]
	v_ashrrev_i32_e32 v6, 5, v0
	v_lshlrev_b64 v[0:1], 2, v[4:5]
	v_cmp_lt_u32_e64 s1, 16, v2
	v_cmp_ne_u32_e64 s2, 20, v2
	v_mad_u32_u24 v22, v2, 3, 0xffffffc0
	v_add_co_u32 v7, s0, s12, v7
	v_add_co_ci_u32_e64 v8, null, s13, v8, s0
	s_lshr_b32 s0, s20, 5
	v_mad_u32_u24 v23, v2, 3, 0xffffffe0
	s_mul_i32 s0, s0, s16
	global_load_dwordx2 v[9:10], v[7:8], off
	s_mul_i32 s4, s0, 3
	v_mov_b32_e32 v5, 0
	s_ashr_i32 s5, s4, 31
	s_bitcmp1_b32 s19, 0
	v_mov_b32_e32 v24, 0x10001
	s_cselect_b32 s0, -1, 0
	s_lshl_b64 s[4:5], s[4:5], 2
	s_xor_b32 s0, s0, -1
	s_ashr_i32 s17, s16, 31
	s_add_u32 s3, s8, s4
	s_addc_u32 s4, s9, s5
	v_add_co_u32 v7, s3, s3, v0
	v_cndmask_b32_e64 v21, 0, 1, s0
	v_cmp_ne_u32_e64 s0, 8, v2
	v_add_co_ci_u32_e64 v8, null, s4, v1, s3
	v_mov_b32_e32 v11, 0
	v_mov_b32_e32 v12, 0
	;; [unrolled: 1-line block ×9, first 2 shown]
	s_mul_hi_i32 s8, s16, 12
	s_mul_i32 s9, s16, 12
	s_lshl_b64 s[4:5], s[16:17], 2
	s_mov_b32 s17, 0x10001
	s_mov_b32 s19, 0x70007
	;; [unrolled: 1-line block ×4, first 2 shown]
	s_branch .LBB32_33
.LBB32_31:                              ;   in Loop: Header=BB32_33 Depth=1
	s_or_b32 exec_lo, exec_lo, s3
	v_add_nc_u32_e32 v0, s26, v4
	v_and_b32_e32 v28, 7, v2
	v_bfe_u32 v27, v2, 3, 3
	v_bfe_u32 v26, v2, 6, 3
	;; [unrolled: 1-line block ×3, first 2 shown]
	v_ashrrev_i32_e32 v1, 31, v0
	s_add_i32 s23, s23, s6
	v_lshlrev_b64 v[0:1], 1, v[0:1]
	v_add_co_u32 v0, s3, s12, v0
	v_add_co_ci_u32_e64 v1, null, s13, v1, s3
	global_load_dwordx2 v[9:10], v[0:1], off
.LBB32_32:                              ;   in Loop: Header=BB32_33 Depth=1
	v_add_co_u32 v38, s3, v7, s4
	v_add_co_ci_u32_e64 v39, null, s5, v8, s3
	global_load_dwordx4 v[0:3], v[7:8], off
	s_add_i32 s20, s20, 32
	global_load_dwordx4 v[34:37], v[38:39], off
	s_waitcnt vmcnt(0)
	v_and_or_b32 v74, v34, s19, 0x64006400
	v_and_or_b32 v63, v34, s24, 0x64006400
	v_lshrrev_b32_e32 v50, 6, v34
	v_lshrrev_b32_e32 v32, 14, v34
	v_add_co_u32 v34, s3, v38, s4
	v_and_or_b32 v75, v35, s19, 0x64006400
	v_and_or_b32 v64, v35, s24, 0x64006400
	v_lshrrev_b32_e32 v51, 6, v35
	v_lshrrev_b32_e32 v31, 14, v35
	v_add_co_ci_u32_e64 v35, null, s5, v39, s3
	v_and_or_b32 v76, v36, s19, 0x64006400
	v_and_or_b32 v65, v36, s24, 0x64006400
	v_lshrrev_b32_e32 v52, 6, v36
	global_load_dwordx4 v[39:42], v[34:35], off
	v_lshrrev_b32_e32 v30, 14, v36
	v_and_or_b32 v33, v0, s19, 0x64006400
	v_and_or_b32 v79, v1, s19, 0x64006400
	;; [unrolled: 1-line block ×8, first 2 shown]
	s_add_i32 s3, s22, 0x400
	v_lshrrev_b32_e32 v62, 6, v0
	v_lshrrev_b32_e32 v67, 6, v1
	;; [unrolled: 1-line block ×4, first 2 shown]
	v_and_or_b32 v77, v37, s19, 0x64006400
	v_and_or_b32 v66, v37, s24, 0x64006400
	v_lshrrev_b32_e32 v53, 6, v37
	v_lshrrev_b32_e32 v29, 14, v37
	;; [unrolled: 1-line block ×4, first 2 shown]
	v_and_b32_e32 v31, 0x20002, v31
	v_and_b32_e32 v30, 0x20002, v30
	v_lshrrev_b32_e32 v0, 15, v0
	v_lshrrev_b32_e32 v3, 15, v3
	v_and_b32_e32 v32, 0x20002, v32
	v_and_or_b32 v1, 0x10001, v1, v31
	v_and_or_b32 v2, 0x10001, v2, v30
	v_and_b32_e32 v29, 0x20002, v29
	v_and_or_b32 v0, 0x10001, v0, v32
	v_and_or_b32 v3, 0x10001, v3, v29
	s_waitcnt vmcnt(0)
	v_and_or_b32 v56, v40, s19, 0x64006400
	v_and_or_b32 v57, v40, s24, 0x64006400
	v_lshrrev_b32_e32 v35, 6, v40
	v_lshrrev_b32_e32 v38, 13, v40
	v_and_or_b32 v58, v41, s19, 0x64006400
	v_and_or_b32 v59, v41, s24, 0x64006400
	v_lshrrev_b32_e32 v34, 6, v41
	v_lshrrev_b32_e32 v36, 13, v41
	;; [unrolled: 4-line block ×3, first 2 shown]
	v_add_nc_u32_e32 v42, v28, v21
	v_and_or_b32 v54, v39, s19, 0x64006400
	v_and_or_b32 v55, v39, s24, 0x64006400
	v_lshrrev_b32_e32 v37, 6, v39
	v_and_b32_e32 v31, 0x40004, v38
	v_cvt_f32_u32_e32 v46, v42
	v_mad_u32_u24 v45, v42, s17, 0xe400e400
	v_add_nc_u32_e32 v42, v27, v21
	v_and_b32_e32 v30, 0x40004, v36
	v_lshrrev_b32_e32 v39, 13, v39
	v_cvt_f16_f32_e32 v68, v46
	v_pk_add_f16 v87, v45, v33
	v_cvt_f32_u32_e32 v47, v42
	v_mad_u32_u24 v44, v42, s17, 0xe400e400
	v_add_nc_u32_e32 v42, v26, v21
	v_mov_b32_e32 v33, s22
	v_or3_b32 v1, v1, v31, 0x64006400
	v_cvt_f16_f32_e32 v69, v47
	v_pk_add_f16 v99, v44, v79
	v_cvt_f32_u32_e32 v48, v42
	v_mad_u32_u24 v43, v42, s17, 0xe400e400
	v_add_nc_u32_e32 v42, v25, v21
	v_sub_f16_e32 v47, 0xd800, v69
	ds_read2_b32 v[96:97], v33 offset0:192 offset1:193
	ds_read2_b32 v[106:107], v33 offset0:2 offset1:3
	v_cvt_f16_f32_e32 v70, v48
	v_cvt_f32_u32_e32 v46, v42
	v_mul_u32_u24_sdwa v47, v47, v24 dst_sel:DWORD dst_unused:UNUSED_PAD src0_sel:WORD_0 src1_sel:DWORD
	v_mad_u32_u24 v42, v42, s17, 0xe400e400
	v_pk_add_f16 v101, v43, v81
	v_sub_f16_e32 v48, 0xd800, v70
	v_cvt_f16_f32_e32 v71, v46
	v_pk_fma_f16 v100, 0x3000, v80, v47 op_sel_hi:[0,1,1]
	ds_read2_b32 v[79:80], v33 offset1:1
	v_sub_f16_e32 v46, 0xd800, v68
	v_mul_u32_u24_sdwa v48, v48, v24 dst_sel:DWORD dst_unused:UNUSED_PAD src0_sel:WORD_0 src1_sel:DWORD
	v_sub_f16_e32 v49, 0xd800, v71
	v_pk_add_f16 v103, v42, v83
	v_sub_f16_e32 v68, 0xcc00, v68
	v_mul_u32_u24_sdwa v46, v46, v24 dst_sel:DWORD dst_unused:UNUSED_PAD src0_sel:WORD_0 src1_sel:DWORD
	v_pk_fma_f16 v102, 0x3000, v82, v48 op_sel_hi:[0,1,1]
	v_mul_u32_u24_sdwa v49, v49, v24 dst_sel:DWORD dst_unused:UNUSED_PAD src0_sel:WORD_0 src1_sel:DWORD
	v_sub_f16_e32 v69, 0xcc00, v69
	v_pk_add_f16 v76, v43, v76
	v_pk_fma_f16 v92, 0x3000, v78, v46 op_sel_hi:[0,1,1]
	v_pk_add_f16 v77, v42, v77
	v_pk_fma_f16 v104, 0x3000, v84, v49 op_sel_hi:[0,1,1]
	v_and_or_b32 v31, v35, s25, 0x64006400
	v_or3_b32 v2, v2, v30, 0x64006400
	v_and_or_b32 v30, v34, s25, 0x64006400
	v_and_b32_e32 v32, 0x40004, v39
	v_and_b32_e32 v29, 0x40004, v41
	v_pk_add_f16 v1, v44, v1
	s_waitcnt lgkmcnt(0)
	v_pk_fma_f16 v81, v99, v79, 0
	v_pk_fma_f16 v78, v87, v79, 0
	v_or3_b32 v0, v0, v32, 0x64006400
	v_and_or_b32 v32, v37, s25, 0x64006400
	v_or3_b32 v3, v3, v29, 0x64006400
	v_pk_fma_f16 v83, v100, v80, v81
	v_pk_fma_f16 v81, v101, v79, 0
	;; [unrolled: 1-line block ×4, first 2 shown]
	v_and_or_b32 v29, v40, s25, 0x64006400
	v_pk_add_f16 v0, v45, v0
	v_pk_fma_f16 v88, v102, v80, v81
	v_pk_fma_f16 v93, v104, v80, v79
	ds_read2_b32 v[80:81], v33 offset0:64 offset1:65
	v_pk_add_f16 v2, v43, v2
	v_pk_add_f16 v3, v42, v3
	s_waitcnt lgkmcnt(0)
	v_pk_fma_f16 v82, v99, v80, 0
	v_pk_fma_f16 v79, v87, v80, 0
	;; [unrolled: 1-line block ×8, first 2 shown]
	ds_read2_b32 v[81:82], v33 offset0:128 offset1:129
	s_waitcnt lgkmcnt(0)
	v_pk_fma_f16 v80, v87, v81, 0
	v_pk_fma_f16 v85, v99, v81, 0
	;; [unrolled: 1-line block ×16, first 2 shown]
	v_mov_b32_e32 v82, s3
	s_add_i32 s3, s22, 0x408
	ds_read2_b32 v[97:98], v82 offset1:1
	s_waitcnt lgkmcnt(0)
	v_pk_fma_f16 v82, v87, v97, 0
	v_pk_fma_f16 v87, v99, v97, 0
	;; [unrolled: 1-line block ×6, first 2 shown]
	v_and_or_b32 v100, v67, s19, 0x64006400
	v_pk_fma_f16 v92, v102, v98, v92
	v_pk_fma_f16 v97, v104, v98, v97
	v_and_or_b32 v98, v62, s19, 0x64006400
	v_and_or_b32 v102, v72, s19, 0x64006400
	;; [unrolled: 1-line block ×3, first 2 shown]
	v_pk_add_f16 v101, v44, v100
	v_and_or_b32 v100, v67, s24, 0x64006400
	v_pk_add_f16 v99, v45, v98
	v_and_or_b32 v98, v62, s24, 0x64006400
	v_pk_add_f16 v103, v43, v102
	v_and_or_b32 v102, v72, s24, 0x64006400
	v_pk_add_f16 v105, v42, v104
	v_and_or_b32 v104, v73, s24, 0x64006400
	v_pk_fma_f16 v98, 0x3000, v98, v46 op_sel_hi:[0,1,1]
	v_pk_fma_f16 v100, 0x3000, v100, v47 op_sel_hi:[0,1,1]
	;; [unrolled: 1-line block ×3, first 2 shown]
	v_pk_fma_f16 v78, v99, v106, v78
	v_pk_fma_f16 v104, 0x3000, v104, v49 op_sel_hi:[0,1,1]
	v_pk_fma_f16 v83, v101, v106, v83
	v_pk_fma_f16 v88, v103, v106, v88
	;; [unrolled: 1-line block ×4, first 2 shown]
	v_and_or_b32 v72, v72, s25, 0x64006400
	v_pk_fma_f16 v83, v100, v107, v83
	v_pk_fma_f16 v88, v102, v107, v88
	;; [unrolled: 1-line block ×3, first 2 shown]
	ds_read2_b32 v[106:107], v33 offset0:66 offset1:67
	v_and_or_b32 v73, v73, s25, 0x64006400
	v_and_or_b32 v62, v62, s25, 0x64006400
	;; [unrolled: 1-line block ×3, first 2 shown]
	s_waitcnt lgkmcnt(0)
	v_pk_fma_f16 v78, v99, v106, v79
	v_pk_fma_f16 v79, v101, v106, v84
	;; [unrolled: 1-line block ×6, first 2 shown]
	ds_read2_b32 v[78:79], v33 offset0:130 offset1:131
	v_pk_fma_f16 v84, v102, v107, v84
	v_pk_fma_f16 v89, v104, v107, v89
	s_waitcnt lgkmcnt(0)
	v_pk_fma_f16 v80, v99, v78, v80
	v_pk_fma_f16 v85, v101, v78, v85
	v_pk_fma_f16 v90, v103, v78, v90
	v_pk_fma_f16 v78, v105, v78, v95
	v_pk_fma_f16 v80, v98, v79, v80
	v_pk_fma_f16 v85, v100, v79, v85
	v_pk_fma_f16 v90, v102, v79, v90
	v_pk_fma_f16 v95, v104, v79, v78
	ds_read2_b32 v[78:79], v33 offset0:194 offset1:195
	s_waitcnt lgkmcnt(0)
	v_pk_fma_f16 v81, v99, v78, v81
	v_pk_fma_f16 v86, v101, v78, v86
	;; [unrolled: 1-line block ×8, first 2 shown]
	v_mov_b32_e32 v78, s3
	s_add_i32 s3, s22, 0x410
	ds_read2_b32 v[78:79], v78 offset1:1
	s_waitcnt lgkmcnt(0)
	v_pk_fma_f16 v82, v99, v78, v82
	v_pk_fma_f16 v87, v101, v78, v87
	;; [unrolled: 1-line block ×4, first 2 shown]
	v_sub_f16_e32 v97, 0xcc00, v71
	v_pk_fma_f16 v82, v98, v79, v82
	v_pk_fma_f16 v87, v100, v79, v87
	;; [unrolled: 1-line block ×4, first 2 shown]
	v_sub_f16_e32 v79, 0xcc00, v70
	v_mul_u32_u24_sdwa v71, v68, v24 dst_sel:DWORD dst_unused:UNUSED_PAD src0_sel:WORD_0 src1_sel:DWORD
	v_mul_u32_u24_sdwa v70, v69, v24 dst_sel:DWORD dst_unused:UNUSED_PAD src0_sel:WORD_0 src1_sel:DWORD
	;; [unrolled: 1-line block ×3, first 2 shown]
	v_pk_add_f16 v98, v45, v74
	v_mul_u32_u24_sdwa v69, v79, v24 dst_sel:DWORD dst_unused:UNUSED_PAD src0_sel:WORD_0 src1_sel:DWORD
	v_pk_fma_f16 v62, 0x2400, v62, v71 op_sel_hi:[0,1,1]
	v_pk_fma_f16 v67, 0x2400, v67, v70 op_sel_hi:[0,1,1]
	;; [unrolled: 1-line block ×3, first 2 shown]
	v_pk_add_f16 v99, v44, v75
	v_pk_fma_f16 v79, 0x2400, v72, v69 op_sel_hi:[0,1,1]
	ds_read2_b32 v[72:73], v33 offset0:4 offset1:5
	v_pk_fma_f16 v32, 0x2400, v32, v71 op_sel_hi:[0,1,1]
	v_pk_fma_f16 v31, 0x2400, v31, v70 op_sel_hi:[0,1,1]
	;; [unrolled: 1-line block ×4, first 2 shown]
	s_waitcnt lgkmcnt(0)
	v_pk_fma_f16 v74, v62, v72, v108
	v_pk_fma_f16 v75, v67, v72, v83
	;; [unrolled: 1-line block ×8, first 2 shown]
	ds_read2_b32 v[72:73], v33 offset0:68 offset1:69
	s_waitcnt lgkmcnt(0)
	v_pk_fma_f16 v74, v62, v72, v94
	v_pk_fma_f16 v75, v67, v72, v106
	;; [unrolled: 1-line block ×8, first 2 shown]
	ds_read2_b32 v[72:73], v33 offset0:132 offset1:133
	s_waitcnt lgkmcnt(0)
	v_pk_fma_f16 v74, v62, v72, v80
	v_pk_fma_f16 v75, v67, v72, v85
	;; [unrolled: 1-line block ×4, first 2 shown]
	ds_read2_b32 v[84:85], v33 offset0:70 offset1:71
	v_pk_fma_f16 v90, v98, v73, v74
	v_pk_fma_f16 v95, v99, v73, v75
	;; [unrolled: 1-line block ×4, first 2 shown]
	ds_read2_b32 v[72:73], v33 offset0:196 offset1:197
	s_waitcnt lgkmcnt(0)
	v_pk_fma_f16 v74, v62, v72, v81
	v_pk_fma_f16 v75, v67, v72, v86
	;; [unrolled: 1-line block ×8, first 2 shown]
	v_mov_b32_e32 v72, s3
	ds_read2_b32 v[80:81], v33 offset0:6 offset1:7
	s_add_i32 s3, s22, 0x418
	ds_read2_b32 v[74:75], v72 offset1:1
	s_waitcnt lgkmcnt(0)
	v_pk_fma_f16 v62, v62, v74, v82
	v_pk_fma_f16 v78, v97, v74, v78
	;; [unrolled: 1-line block ×4, first 2 shown]
	v_pk_fma_f16 v97, 0x3000, v59, v48 op_sel_hi:[0,1,1]
	v_pk_fma_f16 v72, v98, v75, v62
	v_pk_fma_f16 v62, v77, v75, v78
	v_pk_fma_f16 v77, 0x3000, v65, v48 op_sel_hi:[0,1,1]
	v_and_or_b32 v65, v51, s19, 0x64006400
	v_pk_fma_f16 v73, v99, v75, v67
	v_pk_fma_f16 v74, v76, v75, v79
	v_pk_fma_f16 v75, 0x3000, v63, v46 op_sel_hi:[0,1,1]
	v_pk_fma_f16 v63, 0x3000, v66, v49 op_sel_hi:[0,1,1]
	v_pk_add_f16 v66, v44, v65
	v_and_or_b32 v65, v52, s19, 0x64006400
	v_pk_fma_f16 v76, 0x3000, v64, v47 op_sel_hi:[0,1,1]
	v_pk_fma_f16 v82, v77, v80, v83
	v_pk_fma_f16 v78, v75, v80, v88
	;; [unrolled: 1-line block ×3, first 2 shown]
	v_pk_add_f16 v67, v43, v65
	v_pk_fma_f16 v79, v76, v80, v93
	v_and_or_b32 v64, v50, s19, 0x64006400
	v_and_or_b32 v65, v53, s19, 0x64006400
	v_pk_fma_f16 v86, v77, v84, v101
	v_pk_fma_f16 v80, v67, v81, v82
	;; [unrolled: 1-line block ×3, first 2 shown]
	ds_read2_b32 v[88:89], v33 offset0:134 offset1:135
	v_pk_add_f16 v64, v45, v64
	v_pk_add_f16 v65, v42, v65
	v_pk_fma_f16 v79, v66, v81, v79
	v_pk_fma_f16 v87, v63, v84, v102
	v_pk_add_f16 v98, v42, v60
	v_pk_fma_f16 v78, v64, v81, v78
	v_pk_fma_f16 v81, v65, v81, v83
	;; [unrolled: 1-line block ×5, first 2 shown]
	v_pk_fma_f16 v99, 0x3000, v61, v49 op_sel_hi:[0,1,1]
	ds_read2_b32 v[60:61], v33 offset0:138 offset1:139
	v_pk_fma_f16 v83, v66, v85, v83
	v_pk_fma_f16 v85, v65, v85, v87
	s_waitcnt lgkmcnt(1)
	v_pk_fma_f16 v86, v75, v88, v90
	v_pk_fma_f16 v87, v76, v88, v95
	;; [unrolled: 1-line block ×8, first 2 shown]
	ds_read2_b32 v[92:93], v33 offset0:198 offset1:199
	s_waitcnt lgkmcnt(0)
	v_pk_fma_f16 v94, v77, v92, v105
	v_pk_fma_f16 v90, v75, v92, v91
	;; [unrolled: 1-line block ×4, first 2 shown]
	v_pk_add_f16 v96, v43, v58
	v_pk_fma_f16 v92, v67, v93, v94
	v_mov_b32_e32 v94, s3
	v_pk_fma_f16 v90, v64, v93, v90
	v_pk_fma_f16 v91, v66, v93, v91
	;; [unrolled: 1-line block ×3, first 2 shown]
	s_add_i32 s3, s22, 0x420
	ds_read2_b32 v[94:95], v94 offset1:1
	s_waitcnt lgkmcnt(0)
	v_pk_fma_f16 v72, v75, v94, v72
	v_pk_fma_f16 v73, v76, v94, v73
	;; [unrolled: 1-line block ×4, first 2 shown]
	v_pk_add_f16 v94, v44, v56
	v_pk_fma_f16 v63, v64, v95, v72
	v_pk_fma_f16 v64, v66, v95, v73
	v_pk_fma_f16 v66, v67, v95, v74
	v_pk_fma_f16 v62, v65, v95, v62
	v_and_or_b32 v65, v50, s24, 0x64006400
	v_and_or_b32 v50, v50, s25, 0x64006400
	v_and_or_b32 v67, v51, s24, 0x64006400
	v_and_or_b32 v51, v51, s25, 0x64006400
	v_and_or_b32 v72, v52, s24, 0x64006400
	v_and_or_b32 v73, v53, s24, 0x64006400
	v_pk_fma_f16 v74, 0x2400, v50, v71 op_sel_hi:[0,1,1]
	v_and_or_b32 v52, v52, s25, 0x64006400
	v_pk_fma_f16 v75, 0x2400, v51, v70 op_sel_hi:[0,1,1]
	ds_read2_b32 v[50:51], v33 offset0:8 offset1:9
	v_and_or_b32 v53, v53, s25, 0x64006400
	v_pk_fma_f16 v65, 0x3000, v65, v46 op_sel_hi:[0,1,1]
	v_pk_fma_f16 v67, 0x3000, v67, v47 op_sel_hi:[0,1,1]
	;; [unrolled: 1-line block ×7, first 2 shown]
	ds_read2_b32 v[56:57], v33 offset0:74 offset1:75
	s_waitcnt lgkmcnt(1)
	v_pk_fma_f16 v76, v65, v50, v78
	v_pk_fma_f16 v77, v67, v50, v79
	;; [unrolled: 1-line block ×8, first 2 shown]
	ds_read2_b32 v[50:51], v33 offset0:72 offset1:73
	s_waitcnt lgkmcnt(0)
	v_pk_fma_f16 v80, v65, v50, v82
	v_pk_fma_f16 v81, v67, v50, v83
	;; [unrolled: 1-line block ×8, first 2 shown]
	ds_read2_b32 v[50:51], v33 offset0:136 offset1:137
	v_pk_fma_f16 v58, v96, v56, v82
	v_pk_fma_f16 v59, v98, v56, v83
	s_waitcnt lgkmcnt(0)
	v_pk_fma_f16 v84, v65, v50, v86
	v_pk_fma_f16 v85, v67, v50, v87
	v_pk_fma_f16 v86, v72, v50, v88
	v_pk_fma_f16 v50, v73, v50, v89
	v_pk_fma_f16 v84, v74, v51, v84
	v_pk_fma_f16 v85, v75, v51, v85
	v_pk_fma_f16 v86, v52, v51, v86
	v_pk_fma_f16 v87, v53, v51, v50
	ds_read2_b32 v[50:51], v33 offset0:200 offset1:201
	s_waitcnt lgkmcnt(0)
	v_pk_fma_f16 v88, v65, v50, v90
	v_pk_fma_f16 v89, v67, v50, v91
	;; [unrolled: 1-line block ×4, first 2 shown]
	v_pk_add_f16 v92, v45, v54
	v_pk_fma_f16 v88, v74, v51, v88
	v_pk_fma_f16 v89, v75, v51, v89
	;; [unrolled: 1-line block ×4, first 2 shown]
	v_mov_b32_e32 v50, s3
	v_pk_fma_f16 v93, 0x3000, v55, v46 op_sel_hi:[0,1,1]
	s_add_i32 s3, s22, 0x428
	ds_read2_b32 v[50:51], v50 offset1:1
	s_waitcnt lgkmcnt(0)
	v_pk_fma_f16 v63, v65, v50, v63
	v_pk_fma_f16 v64, v67, v50, v64
	;; [unrolled: 1-line block ×8, first 2 shown]
	ds_read2_b32 v[52:53], v33 offset0:10 offset1:11
	ds_read2_b32 v[64:65], v33 offset0:202 offset1:203
	v_pk_fma_f16 v62, v96, v60, v86
	v_pk_fma_f16 v63, v98, v60, v87
	s_waitcnt lgkmcnt(1)
	v_pk_fma_f16 v50, v92, v52, v76
	v_pk_fma_f16 v51, v94, v52, v77
	;; [unrolled: 1-line block ×4, first 2 shown]
	s_waitcnt lgkmcnt(0)
	v_pk_fma_f16 v72, v96, v64, v90
	v_pk_fma_f16 v50, v93, v53, v50
	;; [unrolled: 1-line block ×17, first 2 shown]
	ds_read2_b32 v[78:79], v33 offset0:12 offset1:13
	v_pk_fma_f16 v59, v95, v61, v59
	v_pk_fma_f16 v61, v99, v61, v63
	;; [unrolled: 1-line block ×4, first 2 shown]
	v_mov_b32_e32 v72, s3
	v_pk_fma_f16 v62, v93, v65, v62
	v_and_or_b32 v77, v40, s19, 0x64006400
	v_pk_fma_f16 v63, v95, v65, v63
	v_pk_fma_f16 v65, v99, v65, v73
	ds_read2_b32 v[72:73], v72 offset1:1
	s_add_i32 s3, s22, 0x430
	v_pk_add_f16 v77, v42, v77
	s_waitcnt lgkmcnt(0)
	v_pk_fma_f16 v74, v96, v72, v74
	v_pk_fma_f16 v66, v92, v72, v66
	;; [unrolled: 1-line block ×5, first 2 shown]
	v_and_or_b32 v74, v37, s24, 0x64006400
	v_pk_fma_f16 v66, v93, v73, v66
	v_pk_fma_f16 v67, v95, v73, v67
	;; [unrolled: 1-line block ×3, first 2 shown]
	v_pk_fma_f16 v46, 0x3000, v74, v46 op_sel_hi:[0,1,1]
	v_and_or_b32 v74, v35, s24, 0x64006400
	v_pk_fma_f16 v74, 0x3000, v74, v47 op_sel_hi:[0,1,1]
	v_and_or_b32 v47, v34, s24, 0x64006400
	v_pk_fma_f16 v75, 0x3000, v47, v48 op_sel_hi:[0,1,1]
	v_and_or_b32 v47, v40, s24, 0x64006400
	v_and_or_b32 v48, v35, s19, 0x64006400
	v_pk_fma_f16 v76, 0x3000, v47, v49 op_sel_hi:[0,1,1]
	v_and_or_b32 v47, v37, s19, 0x64006400
	v_pk_add_f16 v48, v44, v48
	v_and_or_b32 v49, v34, s19, 0x64006400
	ds_read2_b32 v[34:35], v33 offset0:14 offset1:15
	v_pk_fma_f16 v53, v77, v78, v53
	v_pk_add_f16 v47, v45, v47
	v_pk_fma_f16 v51, v48, v78, v51
	v_pk_add_f16 v49, v43, v49
	v_pk_fma_f16 v53, v76, v79, v53
	v_pk_fma_f16 v50, v47, v78, v50
	;; [unrolled: 1-line block ×5, first 2 shown]
	ds_read2_b32 v[50:51], v33 offset0:76 offset1:77
	v_pk_fma_f16 v52, v75, v79, v52
	s_waitcnt lgkmcnt(1)
	v_pk_fma_f16 v36, v32, v34, v78
	v_pk_fma_f16 v37, v31, v34, v80
	v_pk_fma_f16 v38, v30, v34, v52
	v_pk_fma_f16 v39, v29, v34, v53
	v_pk_fma_f16 v36, v0, v35, v36
	v_pk_fma_f16 v37, v1, v35, v37
	v_pk_fma_f16 v34, v2, v35, v38
	v_pk_fma_f16 v35, v3, v35, v39
	ds_read2_b32 v[38:39], v33 offset0:78 offset1:79
	s_waitcnt lgkmcnt(1)
	v_pk_fma_f16 v54, v47, v50, v54
	v_pk_fma_f16 v55, v48, v50, v55
	v_pk_fma_f16 v56, v49, v50, v56
	v_pk_fma_f16 v50, v77, v50, v57
	v_pk_fma_f16 v54, v46, v51, v54
	v_pk_fma_f16 v55, v74, v51, v55
	v_pk_fma_f16 v56, v75, v51, v56
	v_pk_fma_f16 v57, v76, v51, v50
	ds_read2_b32 v[50:51], v33 offset0:140 offset1:141
	;; [unrolled: 10-line block ×4, first 2 shown]
	s_waitcnt lgkmcnt(1)
	v_pk_fma_f16 v41, v32, v43, v58
	v_pk_fma_f16 v45, v31, v43, v59
	;; [unrolled: 1-line block ×3, first 2 shown]
	s_waitcnt lgkmcnt(0)
	v_pk_fma_f16 v62, v47, v50, v62
	v_pk_fma_f16 v63, v48, v50, v63
	;; [unrolled: 1-line block ×8, first 2 shown]
	v_mov_b32_e32 v50, s3
	s_add_i32 s3, s22, 0x438
	s_add_i32 s22, s22, 64
	s_cmp_ge_i32 s20, s21
	ds_read2_b32 v[50:51], v50 offset1:1
	s_waitcnt lgkmcnt(0)
	v_pk_fma_f16 v47, v47, v50, v66
	v_pk_fma_f16 v48, v48, v50, v67
	;; [unrolled: 1-line block ×13, first 2 shown]
	ds_read2_b32 v[44:45], v33 offset0:206 offset1:207
	s_waitcnt lgkmcnt(0)
	v_pk_fma_f16 v33, v32, v44, v62
	v_pk_fma_f16 v50, v31, v44, v63
	;; [unrolled: 1-line block ×8, first 2 shown]
	v_mov_b32_e32 v44, s3
	v_add_co_u32 v7, s3, v7, s9
	v_add_co_ci_u32_e64 v8, null, s8, v8, s3
	ds_read2_b32 v[44:45], v44 offset1:1
	s_waitcnt lgkmcnt(0)
	v_pk_fma_f16 v32, v32, v44, v47
	v_pk_fma_f16 v31, v31, v44, v48
	;; [unrolled: 1-line block ×8, first 2 shown]
	v_pack_b32_f16 v29, v36, v37
	v_perm_b32 v30, v37, v36, 0x7060302
	v_pack_b32_f16 v31, v40, v42
	v_perm_b32 v32, v42, v40, 0x7060302
	v_pack_b32_f16 v36, v51, v52
	v_perm_b32 v37, v52, v51, 0x7060302
	v_pack_b32_f16 v40, v54, v50
	v_perm_b32 v42, v50, v54, 0x7060302
	v_pack_b32_f16 v44, v0, v1
	v_perm_b32 v0, v1, v0, 0x7060302
	v_pk_add_f16 v1, v29, v30
	v_pk_add_f16 v29, v31, v32
	;; [unrolled: 1-line block ×5, first 2 shown]
	v_pk_fma_f16 v20, v1, v9, v20
	v_pk_fma_f16 v18, v29, v9, v18
	;; [unrolled: 1-line block ×5, first 2 shown]
	v_pack_b32_f16 v0, v34, v35
	v_perm_b32 v1, v35, v34, 0x7060302
	v_pack_b32_f16 v29, v38, v39
	v_perm_b32 v30, v39, v38, 0x7060302
	;; [unrolled: 2-line block ×5, first 2 shown]
	v_pk_add_f16 v0, v0, v1
	v_pk_add_f16 v1, v29, v30
	;; [unrolled: 1-line block ×5, first 2 shown]
	v_pk_fma_f16 v19, v0, v10, v19
	v_pk_fma_f16 v17, v1, v10, v17
	v_pk_fma_f16 v14, v3, v10, v14
	v_pk_fma_f16 v12, v29, v10, v12
	v_pk_fma_f16 v5, v2, v10, v5
	s_cbranch_scc1 .LBB32_50
.LBB32_33:                              ; =>This Inner Loop Header: Depth=1
	s_cmp_lg_u32 s20, s23
	s_cbranch_scc1 .LBB32_32
; %bb.34:                               ;   in Loop: Header=BB32_33 Depth=1
	s_add_i32 s18, s18, 1
                                        ; implicit-def: $vgpr2
	s_mul_i32 s26, s18, s16
	s_ashr_i32 s3, s26, 31
	s_lshr_b32 s3, s3, 27
	s_add_i32 s3, s26, s3
	s_ashr_i32 s3, s3, 5
	v_mad_u64_u32 v[0:1], null, s3, 3, v[6:7]
	v_ashrrev_i32_e32 v1, 31, v0
	v_lshlrev_b64 v[0:1], 2, v[0:1]
	v_add_co_u32 v0, s3, s10, v0
	v_add_co_ci_u32_e64 v1, null, s11, v1, s3
	global_load_dword v3, v[0:1], off
	s_and_saveexec_b32 s3, vcc_lo
	s_xor_b32 s3, exec_lo, s3
	s_cbranch_execz .LBB32_48
; %bb.35:                               ;   in Loop: Header=BB32_33 Depth=1
                                        ; implicit-def: $vgpr2
	s_and_saveexec_b32 s27, s0
	s_xor_b32 s27, exec_lo, s27
	s_cbranch_execz .LBB32_45
; %bb.36:                               ;   in Loop: Header=BB32_33 Depth=1
                                        ; implicit-def: $vgpr2
	s_and_saveexec_b32 s28, s1
	;; [unrolled: 5-line block ×3, first 2 shown]
	s_xor_b32 s29, exec_lo, s29
	s_cbranch_execz .LBB32_39
; %bb.38:                               ;   in Loop: Header=BB32_33 Depth=1
	s_waitcnt vmcnt(0)
	v_lshrrev_b32_e32 v2, v22, v3
                                        ; implicit-def: $vgpr0_vgpr1
                                        ; implicit-def: $vgpr3
.LBB32_39:                              ;   in Loop: Header=BB32_33 Depth=1
	s_andn2_saveexec_b32 s29, s29
	s_cbranch_execz .LBB32_41
; %bb.40:                               ;   in Loop: Header=BB32_33 Depth=1
	global_load_dword v0, v[0:1], off offset:4
	s_waitcnt vmcnt(0)
	v_alignbit_b32 v0, v0, v3, 28
	v_and_b32_e32 v2, 0xfff, v0
.LBB32_41:                              ;   in Loop: Header=BB32_33 Depth=1
	s_or_b32 exec_lo, exec_lo, s29
                                        ; implicit-def: $vgpr3
.LBB32_42:                              ;   in Loop: Header=BB32_33 Depth=1
	s_andn2_saveexec_b32 s28, s28
	s_cbranch_execz .LBB32_44
; %bb.43:                               ;   in Loop: Header=BB32_33 Depth=1
	s_waitcnt vmcnt(0)
	v_lshrrev_b32_e32 v2, v23, v3
.LBB32_44:                              ;   in Loop: Header=BB32_33 Depth=1
	s_or_b32 exec_lo, exec_lo, s28
                                        ; implicit-def: $vgpr0_vgpr1
                                        ; implicit-def: $vgpr3
.LBB32_45:                              ;   in Loop: Header=BB32_33 Depth=1
	s_andn2_saveexec_b32 s27, s27
	s_cbranch_execz .LBB32_47
; %bb.46:                               ;   in Loop: Header=BB32_33 Depth=1
	global_load_dword v0, v[0:1], off offset:4
	s_waitcnt vmcnt(0)
	v_perm_b32 v0, v3, v0, 0x2010007
	v_and_b32_e32 v2, 0xfff, v0
.LBB32_47:                              ;   in Loop: Header=BB32_33 Depth=1
	s_or_b32 exec_lo, exec_lo, s27
                                        ; implicit-def: $vgpr3
.LBB32_48:                              ;   in Loop: Header=BB32_33 Depth=1
	s_andn2_saveexec_b32 s3, s3
	s_cbranch_execz .LBB32_31
; %bb.49:                               ;   in Loop: Header=BB32_33 Depth=1
	s_waitcnt vmcnt(0)
	v_lshrrev_b32_e32 v2, v16, v3
	s_branch .LBB32_31
.LBB32_50:
	v_mad_u64_u32 v[0:1], null, s7, s16, v[4:5]
	s_mov_b32 s0, 0
	v_ashrrev_i32_e32 v1, 31, v0
	v_lshlrev_b64 v[1:2], 1, v[0:1]
	v_add_co_u32 v1, vcc_lo, s14, v1
	v_add_co_ci_u32_e64 v2, null, s15, v2, vcc_lo
	global_load_dword v4, v[1:2], off
.LBB32_51:                              ; =>This Inner Loop Header: Depth=1
	s_waitcnt vmcnt(0)
	v_pk_add_f16 v3, v20, v4
	global_atomic_cmpswap v3, v[1:2], v[3:4], off glc
	s_waitcnt vmcnt(0)
	v_cmp_eq_u32_e32 vcc_lo, v4, v3
	v_mov_b32_e32 v4, v3
	s_or_b32 s0, vcc_lo, s0
	s_andn2_b32 exec_lo, exec_lo, s0
	s_cbranch_execnz .LBB32_51
; %bb.52:
	s_or_b32 exec_lo, exec_lo, s0
	global_load_dword v4, v[1:2], off offset:4
	s_mov_b32 s0, 0
.LBB32_53:                              ; =>This Inner Loop Header: Depth=1
	s_waitcnt vmcnt(0)
	v_pk_add_f16 v3, v19, v4
	global_atomic_cmpswap v3, v[1:2], v[3:4], off offset:4 glc
	s_waitcnt vmcnt(0)
	v_cmp_eq_u32_e32 vcc_lo, v4, v3
	v_mov_b32_e32 v4, v3
	s_or_b32 s0, vcc_lo, s0
	s_andn2_b32 exec_lo, exec_lo, s0
	s_cbranch_execnz .LBB32_53
; %bb.54:
	s_or_b32 exec_lo, exec_lo, s0
	v_add_nc_u32_e32 v0, s16, v0
	s_mov_b32 s0, 0
	v_ashrrev_i32_e32 v1, 31, v0
	v_lshlrev_b64 v[1:2], 1, v[0:1]
	v_add_co_u32 v1, vcc_lo, s14, v1
	v_add_co_ci_u32_e64 v2, null, s15, v2, vcc_lo
	global_load_dword v4, v[1:2], off
.LBB32_55:                              ; =>This Inner Loop Header: Depth=1
	s_waitcnt vmcnt(0)
	v_pk_add_f16 v3, v18, v4
	global_atomic_cmpswap v3, v[1:2], v[3:4], off glc
	s_waitcnt vmcnt(0)
	v_cmp_eq_u32_e32 vcc_lo, v4, v3
	v_mov_b32_e32 v4, v3
	s_or_b32 s0, vcc_lo, s0
	s_andn2_b32 exec_lo, exec_lo, s0
	s_cbranch_execnz .LBB32_55
; %bb.56:
	s_or_b32 exec_lo, exec_lo, s0
	global_load_dword v4, v[1:2], off offset:4
	s_mov_b32 s0, 0
.LBB32_57:                              ; =>This Inner Loop Header: Depth=1
	s_waitcnt vmcnt(0)
	v_pk_add_f16 v3, v17, v4
	global_atomic_cmpswap v3, v[1:2], v[3:4], off offset:4 glc
	s_waitcnt vmcnt(0)
	v_cmp_eq_u32_e32 vcc_lo, v4, v3
	v_mov_b32_e32 v4, v3
	s_or_b32 s0, vcc_lo, s0
	s_andn2_b32 exec_lo, exec_lo, s0
	s_cbranch_execnz .LBB32_57
; %bb.58:
	s_or_b32 exec_lo, exec_lo, s0
	v_add_nc_u32_e32 v0, s16, v0
	;; [unrolled: 33-line block ×4, first 2 shown]
	s_mov_b32 s0, 0
	v_ashrrev_i32_e32 v1, 31, v0
	v_lshlrev_b64 v[0:1], 1, v[0:1]
	v_add_co_u32 v0, vcc_lo, s14, v0
	v_add_co_ci_u32_e64 v1, null, s15, v1, vcc_lo
	global_load_dword v3, v[0:1], off
.LBB32_67:                              ; =>This Inner Loop Header: Depth=1
	s_waitcnt vmcnt(0)
	v_pk_add_f16 v2, v11, v3
	global_atomic_cmpswap v2, v[0:1], v[2:3], off glc
	s_waitcnt vmcnt(0)
	v_cmp_eq_u32_e32 vcc_lo, v3, v2
	v_mov_b32_e32 v3, v2
	s_or_b32 s0, vcc_lo, s0
	s_andn2_b32 exec_lo, exec_lo, s0
	s_cbranch_execnz .LBB32_67
; %bb.68:
	s_or_b32 exec_lo, exec_lo, s0
	global_load_dword v3, v[0:1], off offset:4
	s_mov_b32 s0, 0
.LBB32_69:                              ; =>This Inner Loop Header: Depth=1
	s_waitcnt vmcnt(0)
	v_pk_add_f16 v2, v5, v3
	global_atomic_cmpswap v2, v[0:1], v[2:3], off offset:4 glc
	s_waitcnt vmcnt(0)
	v_cmp_eq_u32_e32 vcc_lo, v3, v2
	v_mov_b32_e32 v3, v2
	s_or_b32 s0, vcc_lo, s0
	s_andn2_b32 exec_lo, exec_lo, s0
	s_cbranch_execnz .LBB32_69
.LBB32_70:
	s_endpgm
	.section	.rodata,"a",@progbits
	.p2align	6, 0x0
	.amdhsa_kernel _ZN4vllm4gptq33gemm_half_q_half_gptq_3bit_kernelILb1ELi5EEEvPK6__halfPKjS6_S4_PS2_iiiibPKi
		.amdhsa_group_segment_fixed_size 1280
		.amdhsa_private_segment_fixed_size 0
		.amdhsa_kernarg_size 72
		.amdhsa_user_sgpr_count 6
		.amdhsa_user_sgpr_private_segment_buffer 1
		.amdhsa_user_sgpr_dispatch_ptr 0
		.amdhsa_user_sgpr_queue_ptr 0
		.amdhsa_user_sgpr_kernarg_segment_ptr 1
		.amdhsa_user_sgpr_dispatch_id 0
		.amdhsa_user_sgpr_flat_scratch_init 0
		.amdhsa_user_sgpr_private_segment_size 0
		.amdhsa_wavefront_size32 1
		.amdhsa_uses_dynamic_stack 0
		.amdhsa_system_sgpr_private_segment_wavefront_offset 0
		.amdhsa_system_sgpr_workgroup_id_x 1
		.amdhsa_system_sgpr_workgroup_id_y 1
		.amdhsa_system_sgpr_workgroup_id_z 1
		.amdhsa_system_sgpr_workgroup_info 0
		.amdhsa_system_vgpr_workitem_id 0
		.amdhsa_next_free_vgpr 109
		.amdhsa_next_free_sgpr 30
		.amdhsa_reserve_vcc 1
		.amdhsa_reserve_flat_scratch 0
		.amdhsa_float_round_mode_32 0
		.amdhsa_float_round_mode_16_64 0
		.amdhsa_float_denorm_mode_32 3
		.amdhsa_float_denorm_mode_16_64 3
		.amdhsa_dx10_clamp 1
		.amdhsa_ieee_mode 1
		.amdhsa_fp16_overflow 0
		.amdhsa_workgroup_processor_mode 1
		.amdhsa_memory_ordered 1
		.amdhsa_forward_progress 1
		.amdhsa_shared_vgpr_count 0
		.amdhsa_exception_fp_ieee_invalid_op 0
		.amdhsa_exception_fp_denorm_src 0
		.amdhsa_exception_fp_ieee_div_zero 0
		.amdhsa_exception_fp_ieee_overflow 0
		.amdhsa_exception_fp_ieee_underflow 0
		.amdhsa_exception_fp_ieee_inexact 0
		.amdhsa_exception_int_div_zero 0
	.end_amdhsa_kernel
	.section	.text._ZN4vllm4gptq33gemm_half_q_half_gptq_3bit_kernelILb1ELi5EEEvPK6__halfPKjS6_S4_PS2_iiiibPKi,"axG",@progbits,_ZN4vllm4gptq33gemm_half_q_half_gptq_3bit_kernelILb1ELi5EEEvPK6__halfPKjS6_S4_PS2_iiiibPKi,comdat
.Lfunc_end32:
	.size	_ZN4vllm4gptq33gemm_half_q_half_gptq_3bit_kernelILb1ELi5EEEvPK6__halfPKjS6_S4_PS2_iiiibPKi, .Lfunc_end32-_ZN4vllm4gptq33gemm_half_q_half_gptq_3bit_kernelILb1ELi5EEEvPK6__halfPKjS6_S4_PS2_iiiibPKi
                                        ; -- End function
	.set _ZN4vllm4gptq33gemm_half_q_half_gptq_3bit_kernelILb1ELi5EEEvPK6__halfPKjS6_S4_PS2_iiiibPKi.num_vgpr, 109
	.set _ZN4vllm4gptq33gemm_half_q_half_gptq_3bit_kernelILb1ELi5EEEvPK6__halfPKjS6_S4_PS2_iiiibPKi.num_agpr, 0
	.set _ZN4vllm4gptq33gemm_half_q_half_gptq_3bit_kernelILb1ELi5EEEvPK6__halfPKjS6_S4_PS2_iiiibPKi.numbered_sgpr, 30
	.set _ZN4vllm4gptq33gemm_half_q_half_gptq_3bit_kernelILb1ELi5EEEvPK6__halfPKjS6_S4_PS2_iiiibPKi.num_named_barrier, 0
	.set _ZN4vllm4gptq33gemm_half_q_half_gptq_3bit_kernelILb1ELi5EEEvPK6__halfPKjS6_S4_PS2_iiiibPKi.private_seg_size, 0
	.set _ZN4vllm4gptq33gemm_half_q_half_gptq_3bit_kernelILb1ELi5EEEvPK6__halfPKjS6_S4_PS2_iiiibPKi.uses_vcc, 1
	.set _ZN4vllm4gptq33gemm_half_q_half_gptq_3bit_kernelILb1ELi5EEEvPK6__halfPKjS6_S4_PS2_iiiibPKi.uses_flat_scratch, 0
	.set _ZN4vllm4gptq33gemm_half_q_half_gptq_3bit_kernelILb1ELi5EEEvPK6__halfPKjS6_S4_PS2_iiiibPKi.has_dyn_sized_stack, 0
	.set _ZN4vllm4gptq33gemm_half_q_half_gptq_3bit_kernelILb1ELi5EEEvPK6__halfPKjS6_S4_PS2_iiiibPKi.has_recursion, 0
	.set _ZN4vllm4gptq33gemm_half_q_half_gptq_3bit_kernelILb1ELi5EEEvPK6__halfPKjS6_S4_PS2_iiiibPKi.has_indirect_call, 0
	.section	.AMDGPU.csdata,"",@progbits
; Kernel info:
; codeLenInByte = 8344
; TotalNumSgprs: 32
; NumVgprs: 109
; ScratchSize: 0
; MemoryBound: 0
; FloatMode: 240
; IeeeMode: 1
; LDSByteSize: 1280 bytes/workgroup (compile time only)
; SGPRBlocks: 0
; VGPRBlocks: 13
; NumSGPRsForWavesPerEU: 32
; NumVGPRsForWavesPerEU: 109
; Occupancy: 9
; WaveLimiterHint : 0
; COMPUTE_PGM_RSRC2:SCRATCH_EN: 0
; COMPUTE_PGM_RSRC2:USER_SGPR: 6
; COMPUTE_PGM_RSRC2:TRAP_HANDLER: 0
; COMPUTE_PGM_RSRC2:TGID_X_EN: 1
; COMPUTE_PGM_RSRC2:TGID_Y_EN: 1
; COMPUTE_PGM_RSRC2:TGID_Z_EN: 1
; COMPUTE_PGM_RSRC2:TIDIG_COMP_CNT: 0
	.section	.text._ZN4vllm4gptq33gemm_half_q_half_gptq_4bit_kernelILb1ELi5EEEvPK6__halfPKjS6_S4_PS2_iiiibPKi,"axG",@progbits,_ZN4vllm4gptq33gemm_half_q_half_gptq_4bit_kernelILb1ELi5EEEvPK6__halfPKjS6_S4_PS2_iiiibPKi,comdat
	.protected	_ZN4vllm4gptq33gemm_half_q_half_gptq_4bit_kernelILb1ELi5EEEvPK6__halfPKjS6_S4_PS2_iiiibPKi ; -- Begin function _ZN4vllm4gptq33gemm_half_q_half_gptq_4bit_kernelILb1ELi5EEEvPK6__halfPKjS6_S4_PS2_iiiibPKi
	.globl	_ZN4vllm4gptq33gemm_half_q_half_gptq_4bit_kernelILb1ELi5EEEvPK6__halfPKjS6_S4_PS2_iiiibPKi
	.p2align	8
	.type	_ZN4vllm4gptq33gemm_half_q_half_gptq_4bit_kernelILb1ELi5EEEvPK6__halfPKjS6_S4_PS2_iiiibPKi,@function
_ZN4vllm4gptq33gemm_half_q_half_gptq_4bit_kernelILb1ELi5EEEvPK6__halfPKjS6_S4_PS2_iiiibPKi: ; @_ZN4vllm4gptq33gemm_half_q_half_gptq_4bit_kernelILb1ELi5EEEvPK6__halfPKjS6_S4_PS2_iiiibPKi
; %bb.0:
	s_load_dwordx4 s[0:3], s[4:5], 0x2c
	s_lshl_b32 s18, s8, 7
	s_mul_i32 s7, s7, 5
	s_add_i32 s8, s18, 0x80
	s_mov_b32 s20, exec_lo
	v_cvt_f64_u32_e32 v[1:2], s8
	s_load_dwordx8 s[8:15], s[4:5], 0x8
	s_waitcnt lgkmcnt(0)
	v_cvt_f64_i32_e32 v[3:4], s1
	v_min_f64 v[1:2], v[1:2], v[3:4]
	v_cvt_i32_f64_e32 v2, v[1:2]
	v_add_nc_u32_e32 v1, s18, v0
	v_readfirstlane_b32 s19, v2
	v_cmpx_lt_u32_e64 v1, v2
	s_cbranch_execz .LBB33_12
; %bb.1:
	s_clause 0x1
	s_load_dwordx2 s[16:17], s[4:5], 0x40
	s_load_dwordx2 s[4:5], s[4:5], 0x0
	v_mov_b32_e32 v2, 0
	v_lshlrev_b64 v[3:4], 2, v[1:2]
	v_mov_b32_e32 v6, v2
	v_mov_b32_e32 v5, v1
	s_waitcnt lgkmcnt(0)
	v_add_co_u32 v3, vcc_lo, s16, v3
	v_add_co_ci_u32_e64 v4, null, s17, v4, vcc_lo
	s_cmp_lg_u64 s[16:17], 0
	s_cselect_b32 s21, -1, 0
	s_cmp_eq_u64 s[16:17], 0
	s_cbranch_scc1 .LBB33_3
; %bb.2:
	global_load_dword v5, v[3:4], off
	s_waitcnt vmcnt(0)
	v_ashrrev_i32_e32 v6, 31, v5
.LBB33_3:
	s_mul_i32 s16, s7, s1
	v_lshlrev_b64 v[5:6], 1, v[5:6]
	s_ashr_i32 s17, s16, 31
	v_cndmask_b32_e64 v8, 0, 1, s21
	s_lshl_b64 s[22:23], s[16:17], 1
	v_lshlrev_b32_e32 v7, 1, v0
	s_add_u32 s17, s4, s22
	s_addc_u32 s22, s5, s23
	v_add_co_u32 v5, vcc_lo, s17, v5
	v_add_co_ci_u32_e64 v6, null, s22, v6, vcc_lo
	s_andn2_b32 vcc_lo, exec_lo, s21
	global_load_ushort v9, v[5:6], off
	v_mov_b32_e32 v6, v2
	v_mov_b32_e32 v5, v1
	s_waitcnt vmcnt(0)
	ds_write_b16 v7, v9
	s_cbranch_vccnz .LBB33_5
; %bb.4:
	global_load_dword v5, v[3:4], off
	s_waitcnt vmcnt(0)
	v_ashrrev_i32_e32 v6, 31, v5
.LBB33_5:
	s_add_i32 s16, s16, s1
	v_lshlrev_b64 v[5:6], 1, v[5:6]
	s_ashr_i32 s17, s16, 31
	s_lshl_b64 s[22:23], s[16:17], 1
	s_add_u32 s17, s4, s22
	s_addc_u32 s21, s5, s23
	v_add_co_u32 v5, vcc_lo, s17, v5
	v_add_co_ci_u32_e64 v6, null, s21, v6, vcc_lo
	v_cmp_ne_u32_e32 vcc_lo, 1, v8
	global_load_ushort v9, v[5:6], off
	v_mov_b32_e32 v6, v2
	v_mov_b32_e32 v5, v1
	s_waitcnt vmcnt(0)
	ds_write_b16 v7, v9 offset:256
	s_cbranch_vccnz .LBB33_7
; %bb.6:
	global_load_dword v5, v[3:4], off
	s_waitcnt vmcnt(0)
	v_ashrrev_i32_e32 v6, 31, v5
.LBB33_7:
	s_add_i32 s16, s16, s1
	v_lshlrev_b64 v[5:6], 1, v[5:6]
	s_ashr_i32 s17, s16, 31
	s_lshl_b64 s[22:23], s[16:17], 1
	s_add_u32 s17, s4, s22
	s_addc_u32 s21, s5, s23
	v_add_co_u32 v5, vcc_lo, s17, v5
	v_add_co_ci_u32_e64 v6, null, s21, v6, vcc_lo
	v_cmp_ne_u32_e32 vcc_lo, 1, v8
	global_load_ushort v9, v[5:6], off
	v_mov_b32_e32 v6, v2
	v_mov_b32_e32 v5, v1
	s_waitcnt vmcnt(0)
	ds_write_b16 v7, v9 offset:512
	s_cbranch_vccnz .LBB33_9
; %bb.8:
	global_load_dword v5, v[3:4], off
	s_waitcnt vmcnt(0)
	v_ashrrev_i32_e32 v6, 31, v5
.LBB33_9:
	s_add_i32 s16, s16, s1
	v_lshlrev_b64 v[5:6], 1, v[5:6]
	s_ashr_i32 s17, s16, 31
	s_lshl_b64 s[22:23], s[16:17], 1
	s_add_u32 s17, s4, s22
	s_addc_u32 s21, s5, s23
	v_add_co_u32 v5, vcc_lo, s17, v5
	v_add_co_ci_u32_e64 v6, null, s21, v6, vcc_lo
	v_cmp_ne_u32_e32 vcc_lo, 1, v8
	global_load_ushort v5, v[5:6], off
	s_waitcnt vmcnt(0)
	ds_write_b16 v7, v5 offset:768
	s_cbranch_vccnz .LBB33_11
; %bb.10:
	global_load_dword v1, v[3:4], off
	s_waitcnt vmcnt(0)
	v_ashrrev_i32_e32 v2, 31, v1
.LBB33_11:
	s_add_i32 s16, s16, s1
	v_lshlrev_b64 v[1:2], 1, v[1:2]
	s_ashr_i32 s17, s16, 31
	s_lshl_b64 s[16:17], s[16:17], 1
	s_add_u32 s4, s4, s16
	s_addc_u32 s5, s5, s17
	v_add_co_u32 v1, vcc_lo, s4, v1
	v_add_co_ci_u32_e64 v2, null, s5, v2, vcc_lo
	global_load_ushort v1, v[1:2], off
	s_waitcnt vmcnt(0)
	ds_write_b16 v7, v1 offset:1024
.LBB33_12:
	s_or_b32 exec_lo, exec_lo, s20
	v_lshlrev_b32_e32 v1, 2, v0
	s_mov_b32 s4, exec_lo
	v_lshl_add_u32 v1, s6, 9, v1
	v_cmpx_gt_i32_e64 s0, v1
	s_cbranch_execz .LBB33_38
; %bb.13:
	s_abs_i32 s4, s2
	v_mov_b32_e32 v11, 0
	v_cvt_f32_u32_e32 v2, s4
	v_mov_b32_e32 v8, 0
	v_mov_b32_e32 v9, 0
	;; [unrolled: 1-line block ×4, first 2 shown]
	v_rcp_iflag_f32_e32 v2, v2
	v_mov_b32_e32 v13, 0
	v_mov_b32_e32 v14, 0
	;; [unrolled: 1-line block ×9, first 2 shown]
	v_mul_f32_e32 v2, 0x4f7ffffe, v2
	v_mov_b32_e32 v22, 0
	v_mov_b32_e32 v23, 0
	v_mov_b32_e32 v25, 0
	v_mov_b32_e32 v26, 0
	v_cvt_u32_f32_e32 v2, v2
	v_mov_b32_e32 v28, 0
	v_mov_b32_e32 v27, 0
	s_cmp_ge_i32 s18, s19
	s_waitcnt lgkmcnt(0)
	v_readfirstlane_b32 s5, v2
	s_barrier
	buffer_gl0_inv
	s_cbranch_scc1 .LBB33_18
; %bb.14:
	s_sub_i32 s6, 0, s4
	s_abs_i32 s16, s1
	s_mul_i32 s6, s6, s5
	s_ashr_i32 s1, s1, 31
	s_mul_hi_u32 s6, s5, s6
	s_ashr_i32 s2, s2, 31
	s_add_i32 s5, s5, s6
	s_xor_b32 s1, s1, s2
	s_mul_hi_u32 s5, s16, s5
	s_mov_b32 s20, 0xe400e400
	s_mul_i32 s6, s5, s4
	v_mov_b32_e32 v27, 0
	s_sub_i32 s2, s16, s6
	s_add_i32 s6, s5, 1
	s_sub_i32 s16, s2, s4
	s_cmp_ge_u32 s2, s4
	v_mov_b32_e32 v28, 0
	s_cselect_b32 s5, s6, s5
	s_cselect_b32 s2, s16, s2
	s_add_i32 s6, s5, 1
	s_cmp_ge_u32 s2, s4
	v_mov_b32_e32 v26, 0
	s_cselect_b32 s2, s6, s5
	v_mov_b32_e32 v25, 0
	s_xor_b32 s2, s2, s1
	v_mov_b32_e32 v23, 0
	s_sub_i32 s6, s2, s1
	s_bitcmp1_b32 s3, 0
	v_cvt_f32_u32_e32 v2, s6
	s_cselect_b32 s2, -1, 0
	s_sub_i32 s3, 0, s6
	s_xor_b32 s4, s2, -1
	v_mov_b32_e32 v22, 0
	v_rcp_iflag_f32_e32 v2, v2
	v_cndmask_b32_e64 v30, 0, 1, s4
	v_mov_b32_e32 v21, 0
	v_mov_b32_e32 v20, 0
	;; [unrolled: 1-line block ×8, first 2 shown]
	v_mul_f32_e32 v2, 0x4f7ffffe, v2
	v_mov_b32_e32 v13, 0
	v_mov_b32_e32 v12, 0
	;; [unrolled: 1-line block ×4, first 2 shown]
	v_cvt_u32_f32_e32 v2, v2
	v_mov_b32_e32 v8, 0
	s_mov_b32 s17, 0
	v_readfirstlane_b32 s1, v2
	v_ashrrev_i32_e32 v2, 31, v1
	s_mul_i32 s3, s3, s1
	v_lshrrev_b32_e32 v3, 29, v2
	s_mul_hi_u32 s3, s1, s3
	s_add_i32 s1, s1, s3
	v_add_nc_u32_e32 v3, v1, v3
	s_mul_hi_u32 s1, s18, s1
	s_mul_i32 s3, s1, s6
	s_sub_i32 s2, s18, s3
	s_add_i32 s3, s1, 1
	s_sub_i32 s5, s2, s6
	s_cmp_ge_u32 s2, s6
	v_ashrrev_i32_e32 v24, 3, v3
	s_cselect_b32 s1, s3, s1
	s_cselect_b32 s2, s5, s2
	s_add_i32 s3, s1, 1
	s_cmp_ge_u32 s2, s6
	s_cselect_b32 s16, s3, s1
	s_mul_i32 s1, s16, s0
	s_ashr_i32 s2, s1, 31
	v_add_nc_u32_e32 v5, s1, v1
	s_lshr_b32 s2, s2, 29
	s_add_i32 s2, s1, s2
	s_lshr_b32 s1, s18, 3
	s_ashr_i32 s2, s2, 3
	v_ashrrev_i32_e32 v6, 31, v5
	v_add_nc_u32_e32 v3, s2, v24
	s_mul_i32 s2, s0, s1
	s_ashr_i32 s3, s2, 31
	v_lshlrev_b64 v[5:6], 1, v[5:6]
	v_ashrrev_i32_e32 v4, 31, v3
	s_lshl_b64 s[2:3], s[2:3], 2
	s_add_u32 s2, s8, s2
	s_addc_u32 s3, s9, s3
	v_lshlrev_b64 v[3:4], 2, v[3:4]
	s_ashr_i32 s1, s0, 31
	s_add_i32 s8, s6, s18
	s_lshl_b64 s[4:5], s[0:1], 2
	s_mov_b32 s9, 0xf000f0
	v_add_co_u32 v3, vcc_lo, s10, v3
	v_add_co_ci_u32_e64 v4, null, s11, v4, vcc_lo
	v_add_co_u32 v5, vcc_lo, s12, v5
	v_add_co_ci_u32_e64 v6, null, s13, v6, vcc_lo
	global_load_dword v7, v[3:4], off
	global_load_dwordx2 v[4:5], v[5:6], off
	v_lshlrev_b32_e32 v6, 4, v0
	v_lshlrev_b64 v[2:3], 2, v[1:2]
	v_mov_b32_e32 v0, 0x10001
	v_and_b32_e32 v29, 16, v6
	v_add_co_u32 v2, vcc_lo, s2, v2
	v_add_co_ci_u32_e64 v3, null, s3, v3, vcc_lo
	s_lshl_b64 s[2:3], s[0:1], 4
	s_mov_b32 s1, 0xf000f
	s_waitcnt vmcnt(1)
	v_lshrrev_b32_e32 v6, v6, v7
	s_waitcnt vmcnt(0)
	v_cvt_f32_f16_e32 v31, v4
	v_cvt_f32_f16_sdwa v32, v4 dst_sel:DWORD dst_unused:UNUSED_PAD src0_sel:WORD_1
	v_bfe_u32 v4, v7, v29, 4
	v_cvt_f32_f16_e32 v33, v5
	v_bfe_u32 v7, v6, 12, 4
	v_bfe_u32 v11, v6, 8, 4
	;; [unrolled: 1-line block ×3, first 2 shown]
	v_add_nc_u32_e32 v4, v4, v30
	v_cvt_f32_f16_sdwa v34, v5 dst_sel:DWORD dst_unused:UNUSED_PAD src0_sel:WORD_1
	v_add_nc_u32_e32 v5, v7, v30
	v_add_nc_u32_e32 v7, v11, v30
	;; [unrolled: 1-line block ×3, first 2 shown]
	v_cvt_f32_ubyte0_e32 v11, v4
	v_mad_u32_u24 v35, 0x10001, v4, s20
	v_cvt_f32_ubyte0_e32 v4, v5
	v_cvt_f32_ubyte0_e32 v37, v7
	;; [unrolled: 1-line block ×3, first 2 shown]
	v_mad_u32_u24 v36, 0x10001, v5, s20
	v_cvt_f16_f32_e32 v5, v11
	v_cvt_f16_f32_e32 v4, v4
	;; [unrolled: 1-line block ×4, first 2 shown]
	v_mad_u32_u24 v37, 0x10001, v7, s20
	v_sub_f16_e32 v5, 0xd400, v5
	v_sub_f16_e32 v4, 0xd400, v4
	;; [unrolled: 1-line block ×4, first 2 shown]
	v_mad_u32_u24 v38, 0x10001, v6, s20
	v_mul_u32_u24_sdwa v39, v5, v0 dst_sel:DWORD dst_unused:UNUSED_PAD src0_sel:WORD_0 src1_sel:DWORD
	v_mul_u32_u24_sdwa v40, v4, v0 dst_sel:DWORD dst_unused:UNUSED_PAD src0_sel:WORD_0 src1_sel:DWORD
	;; [unrolled: 1-line block ×4, first 2 shown]
	v_mov_b32_e32 v11, 0
	s_branch .LBB33_16
.LBB33_15:                              ;   in Loop: Header=BB33_16 Depth=1
	global_load_dwordx4 v[4:7], v[2:3], off
	s_add_i32 s21, s17, 0x400
	s_add_i32 s18, s18, 32
	s_waitcnt vmcnt(0)
	v_and_or_b32 v43, v4, s1, 0x64006400
	v_and_or_b32 v44, v4, s9, 0x64006400
	v_lshrrev_b32_e32 v4, 8, v4
	v_pk_add_f16 v46, v35, v43
	v_and_or_b32 v43, v5, s9, 0x64006400
	v_and_or_b32 v45, v4, s1, 0x64006400
	;; [unrolled: 1-line block ×3, first 2 shown]
	v_pk_fma_f16 v47, 0x2c00, v44, v39 op_sel_hi:[0,1,1]
	v_pk_fma_f16 v50, 0x2c00, v43, v42 op_sel_hi:[0,1,1]
	v_pk_add_f16 v45, v35, v45
	v_pk_fma_f16 v48, 0x2c00, v4, v39 op_sel_hi:[0,1,1]
	v_and_or_b32 v4, v5, s1, 0x64006400
	v_lshrrev_b32_e32 v5, 8, v5
	v_pk_add_f16 v49, v38, v4
	v_and_or_b32 v44, v5, s1, 0x64006400
	v_and_or_b32 v5, v5, s9, 0x64006400
	;; [unrolled: 1-line block ×3, first 2 shown]
	v_pk_add_f16 v51, v38, v44
	v_pk_fma_f16 v52, 0x2c00, v5, v42 op_sel_hi:[0,1,1]
	v_and_or_b32 v5, v6, s9, 0x64006400
	v_lshrrev_b32_e32 v6, 8, v6
	v_pk_add_f16 v53, v37, v4
	v_and_or_b32 v4, v7, s1, 0x64006400
	v_pk_fma_f16 v54, 0x2c00, v5, v41 op_sel_hi:[0,1,1]
	v_and_or_b32 v43, v6, s1, 0x64006400
	v_and_or_b32 v6, v6, s9, 0x64006400
	;; [unrolled: 1-line block ×3, first 2 shown]
	v_pk_add_f16 v57, v36, v4
	v_pk_add_f16 v55, v37, v43
	v_pk_fma_f16 v56, 0x2c00, v6, v41 op_sel_hi:[0,1,1]
	v_lshrrev_b32_e32 v6, 8, v7
	v_pk_fma_f16 v58, 0x2c00, v5, v40 op_sel_hi:[0,1,1]
	v_and_or_b32 v7, v6, s1, 0x64006400
	v_and_or_b32 v6, v6, s9, 0x64006400
	v_pk_add_f16 v7, v36, v7
	v_pk_fma_f16 v59, 0x2c00, v6, v40 op_sel_hi:[0,1,1]
	v_mov_b32_e32 v6, s17
	ds_read2_b32 v[4:5], v6 offset1:1
	s_waitcnt lgkmcnt(0)
	v_pk_fma_f16 v43, v46, v4, 0
	v_pk_fma_f16 v60, v47, v5, v43
	ds_read2_b32 v[43:44], v6 offset0:2 offset1:3
	s_waitcnt lgkmcnt(0)
	v_pk_fma_f16 v60, v45, v43, v60
	v_pk_fma_f16 v60, v48, v44, v60
	v_cvt_f32_f16_e32 v61, v60
	v_cvt_f32_f16_sdwa v60, v60 dst_sel:DWORD dst_unused:UNUSED_PAD src0_sel:WORD_1
	v_add_f32_e32 v60, v61, v60
	v_fmac_f32_e32 v27, v60, v31
	v_pk_fma_f16 v60, v49, v4, 0
	v_pk_fma_f16 v60, v50, v5, v60
	v_pk_fma_f16 v60, v51, v43, v60
	v_pk_fma_f16 v60, v52, v44, v60
	v_cvt_f32_f16_e32 v61, v60
	v_cvt_f32_f16_sdwa v60, v60 dst_sel:DWORD dst_unused:UNUSED_PAD src0_sel:WORD_1
	v_add_f32_e32 v60, v61, v60
	v_fmac_f32_e32 v28, v60, v32
	v_pk_fma_f16 v60, v53, v4, 0
	v_pk_fma_f16 v4, v57, v4, 0
	v_pk_fma_f16 v60, v54, v5, v60
	v_pk_fma_f16 v4, v58, v5, v4
	v_pk_fma_f16 v60, v55, v43, v60
	v_pk_fma_f16 v4, v7, v43, v4
	v_pk_fma_f16 v60, v56, v44, v60
	v_pk_fma_f16 v4, v59, v44, v4
	v_cvt_f32_f16_e32 v61, v60
	v_cvt_f32_f16_e32 v5, v4
	v_cvt_f32_f16_sdwa v4, v4 dst_sel:DWORD dst_unused:UNUSED_PAD src0_sel:WORD_1
	v_cvt_f32_f16_sdwa v60, v60 dst_sel:DWORD dst_unused:UNUSED_PAD src0_sel:WORD_1
	v_add_f32_e32 v4, v5, v4
	v_add_f32_e32 v60, v61, v60
	v_fmac_f32_e32 v25, v4, v34
	ds_read2_b32 v[4:5], v6 offset0:64 offset1:65
	v_fmac_f32_e32 v26, v60, v33
	s_waitcnt lgkmcnt(0)
	v_pk_fma_f16 v43, v46, v4, 0
	v_pk_fma_f16 v60, v47, v5, v43
	ds_read2_b32 v[43:44], v6 offset0:66 offset1:67
	s_waitcnt lgkmcnt(0)
	v_pk_fma_f16 v60, v45, v43, v60
	v_pk_fma_f16 v60, v48, v44, v60
	v_cvt_f32_f16_e32 v61, v60
	v_cvt_f32_f16_sdwa v60, v60 dst_sel:DWORD dst_unused:UNUSED_PAD src0_sel:WORD_1
	v_add_f32_e32 v60, v61, v60
	v_fmac_f32_e32 v23, v60, v31
	v_pk_fma_f16 v60, v49, v4, 0
	v_pk_fma_f16 v60, v50, v5, v60
	v_pk_fma_f16 v60, v51, v43, v60
	v_pk_fma_f16 v60, v52, v44, v60
	v_cvt_f32_f16_e32 v61, v60
	v_cvt_f32_f16_sdwa v60, v60 dst_sel:DWORD dst_unused:UNUSED_PAD src0_sel:WORD_1
	v_add_f32_e32 v60, v61, v60
	v_fmac_f32_e32 v22, v60, v32
	v_pk_fma_f16 v60, v53, v4, 0
	v_pk_fma_f16 v4, v57, v4, 0
	v_pk_fma_f16 v60, v54, v5, v60
	v_pk_fma_f16 v4, v58, v5, v4
	v_pk_fma_f16 v60, v55, v43, v60
	v_pk_fma_f16 v4, v7, v43, v4
	v_pk_fma_f16 v60, v56, v44, v60
	v_pk_fma_f16 v4, v59, v44, v4
	v_cvt_f32_f16_e32 v61, v60
	v_cvt_f32_f16_e32 v5, v4
	v_cvt_f32_f16_sdwa v4, v4 dst_sel:DWORD dst_unused:UNUSED_PAD src0_sel:WORD_1
	v_cvt_f32_f16_sdwa v60, v60 dst_sel:DWORD dst_unused:UNUSED_PAD src0_sel:WORD_1
	v_add_f32_e32 v4, v5, v4
	v_add_f32_e32 v60, v61, v60
	v_fmac_f32_e32 v20, v4, v34
	ds_read2_b32 v[4:5], v6 offset0:128 offset1:129
	v_fmac_f32_e32 v21, v60, v33
	;; [unrolled: 36-line block ×3, first 2 shown]
	s_waitcnt lgkmcnt(0)
	v_pk_fma_f16 v43, v46, v4, 0
	v_pk_fma_f16 v60, v47, v5, v43
	ds_read2_b32 v[43:44], v6 offset0:194 offset1:195
	s_waitcnt lgkmcnt(0)
	v_pk_fma_f16 v60, v45, v43, v60
	v_pk_fma_f16 v60, v48, v44, v60
	v_cvt_f32_f16_e32 v61, v60
	v_cvt_f32_f16_sdwa v60, v60 dst_sel:DWORD dst_unused:UNUSED_PAD src0_sel:WORD_1
	v_add_f32_e32 v60, v61, v60
	v_fmac_f32_e32 v15, v60, v31
	v_pk_fma_f16 v60, v49, v4, 0
	v_pk_fma_f16 v60, v50, v5, v60
	;; [unrolled: 1-line block ×4, first 2 shown]
	v_cvt_f32_f16_e32 v61, v60
	v_cvt_f32_f16_sdwa v60, v60 dst_sel:DWORD dst_unused:UNUSED_PAD src0_sel:WORD_1
	v_add_f32_e32 v60, v61, v60
	v_fmac_f32_e32 v14, v60, v32
	v_pk_fma_f16 v60, v53, v4, 0
	v_pk_fma_f16 v4, v57, v4, 0
	;; [unrolled: 1-line block ×8, first 2 shown]
	v_cvt_f32_f16_e32 v61, v60
	v_cvt_f32_f16_e32 v5, v4
	v_cvt_f32_f16_sdwa v4, v4 dst_sel:DWORD dst_unused:UNUSED_PAD src0_sel:WORD_1
	v_cvt_f32_f16_sdwa v60, v60 dst_sel:DWORD dst_unused:UNUSED_PAD src0_sel:WORD_1
	v_add_f32_e32 v4, v5, v4
	v_add_f32_e32 v60, v61, v60
	v_fmac_f32_e32 v12, v4, v34
	v_mov_b32_e32 v4, s21
	s_add_i32 s21, s17, 0x408
	v_fmac_f32_e32 v13, v60, v33
	ds_read2_b32 v[4:5], v4 offset1:1
	s_waitcnt lgkmcnt(0)
	v_pk_fma_f16 v43, v46, v4, 0
	v_pk_fma_f16 v46, v47, v5, v43
	v_mov_b32_e32 v43, s21
	s_add_i32 s21, s17, 0x410
	ds_read2_b32 v[43:44], v43 offset1:1
	s_waitcnt lgkmcnt(0)
	v_pk_fma_f16 v45, v45, v43, v46
	v_pk_fma_f16 v45, v48, v44, v45
	v_cvt_f32_f16_e32 v46, v45
	v_cvt_f32_f16_sdwa v45, v45 dst_sel:DWORD dst_unused:UNUSED_PAD src0_sel:WORD_1
	v_add_f32_e32 v45, v46, v45
	v_fmac_f32_e32 v10, v45, v31
	v_pk_fma_f16 v45, v49, v4, 0
	v_pk_fma_f16 v45, v50, v5, v45
	;; [unrolled: 1-line block ×4, first 2 shown]
	v_cvt_f32_f16_e32 v46, v45
	v_cvt_f32_f16_sdwa v45, v45 dst_sel:DWORD dst_unused:UNUSED_PAD src0_sel:WORD_1
	v_add_f32_e32 v45, v46, v45
	v_fmac_f32_e32 v9, v45, v32
	v_pk_fma_f16 v45, v53, v4, 0
	v_pk_fma_f16 v4, v57, v4, 0
	;; [unrolled: 1-line block ×8, first 2 shown]
	v_cvt_f32_f16_e32 v46, v45
	v_cvt_f32_f16_e32 v5, v4
	v_cvt_f32_f16_sdwa v4, v4 dst_sel:DWORD dst_unused:UNUSED_PAD src0_sel:WORD_1
	v_cvt_f32_f16_sdwa v45, v45 dst_sel:DWORD dst_unused:UNUSED_PAD src0_sel:WORD_1
	v_add_f32_e32 v4, v5, v4
	v_add_f32_e32 v45, v46, v45
	v_fmac_f32_e32 v11, v4, v34
	v_add_co_u32 v4, vcc_lo, v2, s4
	v_add_co_ci_u32_e64 v5, null, s5, v3, vcc_lo
	v_fmac_f32_e32 v8, v45, v33
	global_load_dwordx4 v[43:46], v[4:5], off
	v_add_co_u32 v4, vcc_lo, v4, s4
	v_add_co_ci_u32_e64 v5, null, s5, v5, vcc_lo
	s_waitcnt vmcnt(0)
	v_and_or_b32 v7, v43, s1, 0x64006400
	v_and_or_b32 v47, v43, s9, 0x64006400
	v_lshrrev_b32_e32 v43, 8, v43
	v_and_or_b32 v50, v44, s9, 0x64006400
	v_pk_add_f16 v7, v35, v7
	v_pk_fma_f16 v47, 0x2c00, v47, v39 op_sel_hi:[0,1,1]
	v_and_or_b32 v48, v43, s1, 0x64006400
	v_and_or_b32 v43, v43, s9, 0x64006400
	v_pk_fma_f16 v50, 0x2c00, v50, v42 op_sel_hi:[0,1,1]
	v_pk_add_f16 v48, v35, v48
	v_pk_fma_f16 v49, 0x2c00, v43, v39 op_sel_hi:[0,1,1]
	v_and_or_b32 v43, v44, s1, 0x64006400
	v_lshrrev_b32_e32 v44, 8, v44
	v_pk_add_f16 v52, v38, v43
	v_and_or_b32 v51, v44, s1, 0x64006400
	v_and_or_b32 v44, v44, s9, 0x64006400
	v_and_or_b32 v43, v45, s1, 0x64006400
	v_pk_add_f16 v51, v38, v51
	v_pk_fma_f16 v53, 0x2c00, v44, v42 op_sel_hi:[0,1,1]
	v_and_or_b32 v44, v45, s9, 0x64006400
	v_pk_add_f16 v55, v37, v43
	v_and_or_b32 v43, v46, s1, 0x64006400
	v_lshrrev_b32_e32 v45, 8, v45
	v_pk_fma_f16 v56, 0x2c00, v44, v41 op_sel_hi:[0,1,1]
	v_and_or_b32 v44, v46, s9, 0x64006400
	v_pk_add_f16 v58, v36, v43
	v_and_or_b32 v54, v45, s1, 0x64006400
	v_and_or_b32 v45, v45, s9, 0x64006400
	v_pk_fma_f16 v59, 0x2c00, v44, v40 op_sel_hi:[0,1,1]
	ds_read2_b32 v[43:44], v6 offset0:4 offset1:5
	v_pk_add_f16 v54, v37, v54
	v_pk_fma_f16 v57, 0x2c00, v45, v41 op_sel_hi:[0,1,1]
	v_lshrrev_b32_e32 v45, 8, v46
	v_and_or_b32 v46, v45, s1, 0x64006400
	v_and_or_b32 v45, v45, s9, 0x64006400
	v_pk_add_f16 v60, v36, v46
	v_pk_fma_f16 v61, 0x2c00, v45, v40 op_sel_hi:[0,1,1]
	s_waitcnt lgkmcnt(0)
	v_pk_fma_f16 v45, v7, v43, 0
	v_pk_fma_f16 v62, v47, v44, v45
	ds_read2_b32 v[45:46], v6 offset0:6 offset1:7
	s_waitcnt lgkmcnt(0)
	v_pk_fma_f16 v62, v48, v45, v62
	v_pk_fma_f16 v62, v49, v46, v62
	v_cvt_f32_f16_e32 v63, v62
	v_cvt_f32_f16_sdwa v62, v62 dst_sel:DWORD dst_unused:UNUSED_PAD src0_sel:WORD_1
	v_add_f32_e32 v62, v63, v62
	v_fmac_f32_e32 v27, v62, v31
	v_pk_fma_f16 v62, v52, v43, 0
	v_pk_fma_f16 v62, v50, v44, v62
	v_pk_fma_f16 v62, v51, v45, v62
	v_pk_fma_f16 v62, v53, v46, v62
	v_cvt_f32_f16_e32 v63, v62
	v_cvt_f32_f16_sdwa v62, v62 dst_sel:DWORD dst_unused:UNUSED_PAD src0_sel:WORD_1
	v_add_f32_e32 v62, v63, v62
	v_fmac_f32_e32 v28, v62, v32
	v_pk_fma_f16 v62, v55, v43, 0
	v_pk_fma_f16 v43, v58, v43, 0
	v_pk_fma_f16 v62, v56, v44, v62
	v_pk_fma_f16 v43, v59, v44, v43
	v_pk_fma_f16 v62, v54, v45, v62
	v_pk_fma_f16 v43, v60, v45, v43
	v_pk_fma_f16 v62, v57, v46, v62
	v_pk_fma_f16 v43, v61, v46, v43
	v_cvt_f32_f16_e32 v63, v62
	v_cvt_f32_f16_e32 v44, v43
	v_cvt_f32_f16_sdwa v43, v43 dst_sel:DWORD dst_unused:UNUSED_PAD src0_sel:WORD_1
	v_cvt_f32_f16_sdwa v62, v62 dst_sel:DWORD dst_unused:UNUSED_PAD src0_sel:WORD_1
	v_add_f32_e32 v43, v44, v43
	v_add_f32_e32 v62, v63, v62
	v_fmac_f32_e32 v25, v43, v34
	ds_read2_b32 v[43:44], v6 offset0:68 offset1:69
	v_fmac_f32_e32 v26, v62, v33
	s_waitcnt lgkmcnt(0)
	v_pk_fma_f16 v45, v7, v43, 0
	v_pk_fma_f16 v62, v47, v44, v45
	ds_read2_b32 v[45:46], v6 offset0:70 offset1:71
	s_waitcnt lgkmcnt(0)
	v_pk_fma_f16 v62, v48, v45, v62
	v_pk_fma_f16 v62, v49, v46, v62
	v_cvt_f32_f16_e32 v63, v62
	v_cvt_f32_f16_sdwa v62, v62 dst_sel:DWORD dst_unused:UNUSED_PAD src0_sel:WORD_1
	v_add_f32_e32 v62, v63, v62
	v_fmac_f32_e32 v23, v62, v31
	v_pk_fma_f16 v62, v52, v43, 0
	v_pk_fma_f16 v62, v50, v44, v62
	v_pk_fma_f16 v62, v51, v45, v62
	v_pk_fma_f16 v62, v53, v46, v62
	v_cvt_f32_f16_e32 v63, v62
	v_cvt_f32_f16_sdwa v62, v62 dst_sel:DWORD dst_unused:UNUSED_PAD src0_sel:WORD_1
	v_add_f32_e32 v62, v63, v62
	v_fmac_f32_e32 v22, v62, v32
	v_pk_fma_f16 v62, v55, v43, 0
	v_pk_fma_f16 v43, v58, v43, 0
	v_pk_fma_f16 v62, v56, v44, v62
	v_pk_fma_f16 v43, v59, v44, v43
	v_pk_fma_f16 v62, v54, v45, v62
	v_pk_fma_f16 v43, v60, v45, v43
	v_pk_fma_f16 v62, v57, v46, v62
	v_pk_fma_f16 v43, v61, v46, v43
	v_cvt_f32_f16_e32 v63, v62
	v_cvt_f32_f16_e32 v44, v43
	v_cvt_f32_f16_sdwa v43, v43 dst_sel:DWORD dst_unused:UNUSED_PAD src0_sel:WORD_1
	v_cvt_f32_f16_sdwa v62, v62 dst_sel:DWORD dst_unused:UNUSED_PAD src0_sel:WORD_1
	v_add_f32_e32 v43, v44, v43
	v_add_f32_e32 v62, v63, v62
	v_fmac_f32_e32 v20, v43, v34
	ds_read2_b32 v[43:44], v6 offset0:132 offset1:133
	v_fmac_f32_e32 v21, v62, v33
	;; [unrolled: 36-line block ×3, first 2 shown]
	s_waitcnt lgkmcnt(0)
	v_pk_fma_f16 v45, v7, v43, 0
	v_pk_fma_f16 v62, v47, v44, v45
	ds_read2_b32 v[45:46], v6 offset0:198 offset1:199
	s_waitcnt lgkmcnt(0)
	v_pk_fma_f16 v62, v48, v45, v62
	v_pk_fma_f16 v62, v49, v46, v62
	v_cvt_f32_f16_e32 v63, v62
	v_cvt_f32_f16_sdwa v62, v62 dst_sel:DWORD dst_unused:UNUSED_PAD src0_sel:WORD_1
	v_add_f32_e32 v62, v63, v62
	v_fmac_f32_e32 v15, v62, v31
	v_pk_fma_f16 v62, v52, v43, 0
	v_pk_fma_f16 v62, v50, v44, v62
	;; [unrolled: 1-line block ×4, first 2 shown]
	v_cvt_f32_f16_e32 v63, v62
	v_cvt_f32_f16_sdwa v62, v62 dst_sel:DWORD dst_unused:UNUSED_PAD src0_sel:WORD_1
	v_add_f32_e32 v62, v63, v62
	v_fmac_f32_e32 v14, v62, v32
	v_pk_fma_f16 v62, v55, v43, 0
	v_pk_fma_f16 v43, v58, v43, 0
	;; [unrolled: 1-line block ×8, first 2 shown]
	v_cvt_f32_f16_e32 v63, v62
	v_cvt_f32_f16_e32 v44, v43
	v_cvt_f32_f16_sdwa v43, v43 dst_sel:DWORD dst_unused:UNUSED_PAD src0_sel:WORD_1
	v_cvt_f32_f16_sdwa v62, v62 dst_sel:DWORD dst_unused:UNUSED_PAD src0_sel:WORD_1
	v_add_f32_e32 v43, v44, v43
	v_add_f32_e32 v62, v63, v62
	v_fmac_f32_e32 v12, v43, v34
	v_mov_b32_e32 v43, s21
	s_add_i32 s21, s17, 0x418
	v_fmac_f32_e32 v13, v62, v33
	v_mov_b32_e32 v45, s21
	s_add_i32 s21, s17, 0x420
	ds_read2_b32 v[43:44], v43 offset1:1
	ds_read2_b32 v[45:46], v45 offset1:1
	s_waitcnt lgkmcnt(1)
	v_pk_fma_f16 v7, v7, v43, 0
	v_pk_fma_f16 v7, v47, v44, v7
	s_waitcnt lgkmcnt(0)
	v_pk_fma_f16 v7, v48, v45, v7
	v_pk_fma_f16 v7, v49, v46, v7
	v_cvt_f32_f16_e32 v47, v7
	v_cvt_f32_f16_sdwa v7, v7 dst_sel:DWORD dst_unused:UNUSED_PAD src0_sel:WORD_1
	v_add_f32_e32 v7, v47, v7
	v_fmac_f32_e32 v10, v7, v31
	v_pk_fma_f16 v7, v52, v43, 0
	v_pk_fma_f16 v7, v50, v44, v7
	;; [unrolled: 1-line block ×4, first 2 shown]
	v_cvt_f32_f16_e32 v47, v7
	v_cvt_f32_f16_sdwa v7, v7 dst_sel:DWORD dst_unused:UNUSED_PAD src0_sel:WORD_1
	v_add_f32_e32 v7, v47, v7
	v_fmac_f32_e32 v9, v7, v32
	v_pk_fma_f16 v7, v55, v43, 0
	v_pk_fma_f16 v7, v56, v44, v7
	;; [unrolled: 1-line block ×3, first 2 shown]
	global_load_dwordx4 v[53:56], v[4:5], off
	v_add_co_u32 v4, vcc_lo, v4, s4
	v_add_co_ci_u32_e64 v5, null, s5, v5, vcc_lo
	v_pk_fma_f16 v7, v57, v46, v7
	v_add_co_u32 v2, vcc_lo, v2, s2
	v_add_co_ci_u32_e64 v3, null, s3, v3, vcc_lo
	v_cvt_f32_f16_e32 v47, v7
	v_cvt_f32_f16_sdwa v7, v7 dst_sel:DWORD dst_unused:UNUSED_PAD src0_sel:WORD_1
	v_add_f32_e32 v7, v47, v7
	v_fmac_f32_e32 v8, v7, v33
	v_pk_fma_f16 v7, v58, v43, 0
	v_pk_fma_f16 v7, v59, v44, v7
	v_pk_fma_f16 v7, v60, v45, v7
	v_pk_fma_f16 v7, v61, v46, v7
	v_cvt_f32_f16_e32 v43, v7
	v_cvt_f32_f16_sdwa v7, v7 dst_sel:DWORD dst_unused:UNUSED_PAD src0_sel:WORD_1
	v_add_f32_e32 v7, v43, v7
	v_fmac_f32_e32 v11, v7, v34
	s_waitcnt vmcnt(0)
	v_lshrrev_b32_e32 v44, 8, v53
	v_and_or_b32 v7, v53, s1, 0x64006400
	v_and_or_b32 v43, v53, s9, 0x64006400
	v_lshrrev_b32_e32 v48, 8, v54
	v_lshrrev_b32_e32 v52, 8, v55
	v_and_or_b32 v46, v44, s1, 0x64006400
	v_and_or_b32 v47, v44, s9, 0x64006400
	v_pk_add_f16 v45, v35, v7
	v_pk_fma_f16 v44, 0x2c00, v43, v39 op_sel_hi:[0,1,1]
	v_and_or_b32 v49, v48, s1, 0x64006400
	v_pk_add_f16 v7, v35, v46
	v_pk_fma_f16 v43, 0x2c00, v47, v39 op_sel_hi:[0,1,1]
	v_and_or_b32 v46, v54, s1, 0x64006400
	v_and_or_b32 v47, v54, s9, 0x64006400
	;; [unrolled: 1-line block ×5, first 2 shown]
	v_pk_add_f16 v48, v38, v49
	v_and_or_b32 v51, v55, s9, 0x64006400
	v_pk_fma_f16 v49, 0x2c00, v50, v42 op_sel_hi:[0,1,1]
	v_and_or_b32 v50, v55, s1, 0x64006400
	v_pk_add_f16 v52, v37, v53
	v_pk_fma_f16 v53, 0x2c00, v54, v41 op_sel_hi:[0,1,1]
	v_and_or_b32 v54, v56, s1, 0x64006400
	v_and_or_b32 v55, v56, s9, 0x64006400
	v_lshrrev_b32_e32 v57, 8, v56
	v_pk_add_f16 v46, v38, v46
	v_pk_fma_f16 v47, 0x2c00, v47, v42 op_sel_hi:[0,1,1]
	v_pk_add_f16 v58, v36, v54
	v_pk_fma_f16 v59, 0x2c00, v55, v40 op_sel_hi:[0,1,1]
	ds_read2_b32 v[54:55], v6 offset0:8 offset1:9
	v_and_or_b32 v56, v57, s1, 0x64006400
	v_and_or_b32 v57, v57, s9, 0x64006400
	v_pk_add_f16 v50, v37, v50
	v_pk_fma_f16 v51, 0x2c00, v51, v41 op_sel_hi:[0,1,1]
	v_pk_add_f16 v60, v36, v56
	v_pk_fma_f16 v61, 0x2c00, v57, v40 op_sel_hi:[0,1,1]
	s_waitcnt lgkmcnt(0)
	v_pk_fma_f16 v56, v45, v54, 0
	v_pk_fma_f16 v62, v44, v55, v56
	ds_read2_b32 v[56:57], v6 offset0:10 offset1:11
	s_waitcnt lgkmcnt(0)
	v_pk_fma_f16 v62, v7, v56, v62
	v_pk_fma_f16 v62, v43, v57, v62
	v_cvt_f32_f16_e32 v63, v62
	v_cvt_f32_f16_sdwa v62, v62 dst_sel:DWORD dst_unused:UNUSED_PAD src0_sel:WORD_1
	v_add_f32_e32 v62, v63, v62
	v_fmac_f32_e32 v27, v62, v31
	v_pk_fma_f16 v62, v46, v54, 0
	v_pk_fma_f16 v62, v47, v55, v62
	v_pk_fma_f16 v62, v48, v56, v62
	v_pk_fma_f16 v62, v49, v57, v62
	v_cvt_f32_f16_e32 v63, v62
	v_cvt_f32_f16_sdwa v62, v62 dst_sel:DWORD dst_unused:UNUSED_PAD src0_sel:WORD_1
	v_add_f32_e32 v62, v63, v62
	v_fmac_f32_e32 v28, v62, v32
	v_pk_fma_f16 v62, v50, v54, 0
	v_pk_fma_f16 v54, v58, v54, 0
	v_pk_fma_f16 v62, v51, v55, v62
	v_pk_fma_f16 v54, v59, v55, v54
	v_pk_fma_f16 v62, v52, v56, v62
	v_pk_fma_f16 v54, v60, v56, v54
	v_pk_fma_f16 v62, v53, v57, v62
	v_pk_fma_f16 v54, v61, v57, v54
	v_cvt_f32_f16_e32 v63, v62
	v_cvt_f32_f16_e32 v55, v54
	v_cvt_f32_f16_sdwa v54, v54 dst_sel:DWORD dst_unused:UNUSED_PAD src0_sel:WORD_1
	v_cvt_f32_f16_sdwa v62, v62 dst_sel:DWORD dst_unused:UNUSED_PAD src0_sel:WORD_1
	v_add_f32_e32 v54, v55, v54
	v_add_f32_e32 v62, v63, v62
	v_fmac_f32_e32 v25, v54, v34
	ds_read2_b32 v[54:55], v6 offset0:72 offset1:73
	v_fmac_f32_e32 v26, v62, v33
	s_waitcnt lgkmcnt(0)
	v_pk_fma_f16 v56, v45, v54, 0
	v_pk_fma_f16 v62, v44, v55, v56
	ds_read2_b32 v[56:57], v6 offset0:74 offset1:75
	s_waitcnt lgkmcnt(0)
	v_pk_fma_f16 v62, v7, v56, v62
	v_pk_fma_f16 v62, v43, v57, v62
	v_cvt_f32_f16_e32 v63, v62
	v_cvt_f32_f16_sdwa v62, v62 dst_sel:DWORD dst_unused:UNUSED_PAD src0_sel:WORD_1
	v_add_f32_e32 v62, v63, v62
	v_fmac_f32_e32 v23, v62, v31
	v_pk_fma_f16 v62, v46, v54, 0
	v_pk_fma_f16 v62, v47, v55, v62
	v_pk_fma_f16 v62, v48, v56, v62
	v_pk_fma_f16 v62, v49, v57, v62
	v_cvt_f32_f16_e32 v63, v62
	v_cvt_f32_f16_sdwa v62, v62 dst_sel:DWORD dst_unused:UNUSED_PAD src0_sel:WORD_1
	v_add_f32_e32 v62, v63, v62
	v_fmac_f32_e32 v22, v62, v32
	v_pk_fma_f16 v62, v50, v54, 0
	v_pk_fma_f16 v54, v58, v54, 0
	v_pk_fma_f16 v62, v51, v55, v62
	v_pk_fma_f16 v54, v59, v55, v54
	v_pk_fma_f16 v62, v52, v56, v62
	v_pk_fma_f16 v54, v60, v56, v54
	v_pk_fma_f16 v62, v53, v57, v62
	v_pk_fma_f16 v54, v61, v57, v54
	v_cvt_f32_f16_e32 v63, v62
	v_cvt_f32_f16_e32 v55, v54
	v_cvt_f32_f16_sdwa v54, v54 dst_sel:DWORD dst_unused:UNUSED_PAD src0_sel:WORD_1
	v_cvt_f32_f16_sdwa v62, v62 dst_sel:DWORD dst_unused:UNUSED_PAD src0_sel:WORD_1
	v_add_f32_e32 v54, v55, v54
	v_add_f32_e32 v62, v63, v62
	v_fmac_f32_e32 v20, v54, v34
	ds_read2_b32 v[54:55], v6 offset0:136 offset1:137
	v_fmac_f32_e32 v21, v62, v33
	;; [unrolled: 36-line block ×3, first 2 shown]
	s_waitcnt lgkmcnt(0)
	v_pk_fma_f16 v56, v45, v54, 0
	v_pk_fma_f16 v62, v44, v55, v56
	ds_read2_b32 v[56:57], v6 offset0:202 offset1:203
	s_waitcnt lgkmcnt(0)
	v_pk_fma_f16 v62, v7, v56, v62
	v_pk_fma_f16 v62, v43, v57, v62
	v_cvt_f32_f16_e32 v63, v62
	v_cvt_f32_f16_sdwa v62, v62 dst_sel:DWORD dst_unused:UNUSED_PAD src0_sel:WORD_1
	v_add_f32_e32 v62, v63, v62
	v_fmac_f32_e32 v15, v62, v31
	v_pk_fma_f16 v62, v46, v54, 0
	v_pk_fma_f16 v62, v47, v55, v62
	;; [unrolled: 1-line block ×4, first 2 shown]
	v_cvt_f32_f16_e32 v63, v62
	v_cvt_f32_f16_sdwa v62, v62 dst_sel:DWORD dst_unused:UNUSED_PAD src0_sel:WORD_1
	v_add_f32_e32 v62, v63, v62
	v_fmac_f32_e32 v14, v62, v32
	v_pk_fma_f16 v62, v50, v54, 0
	v_pk_fma_f16 v54, v58, v54, 0
	;; [unrolled: 1-line block ×8, first 2 shown]
	v_cvt_f32_f16_e32 v63, v62
	v_cvt_f32_f16_e32 v55, v54
	v_cvt_f32_f16_sdwa v54, v54 dst_sel:DWORD dst_unused:UNUSED_PAD src0_sel:WORD_1
	v_cvt_f32_f16_sdwa v62, v62 dst_sel:DWORD dst_unused:UNUSED_PAD src0_sel:WORD_1
	v_add_f32_e32 v54, v55, v54
	v_add_f32_e32 v62, v63, v62
	v_fmac_f32_e32 v12, v54, v34
	v_mov_b32_e32 v54, s21
	s_add_i32 s21, s17, 0x428
	v_fmac_f32_e32 v13, v62, v33
	ds_read2_b32 v[54:55], v54 offset1:1
	s_waitcnt lgkmcnt(0)
	v_pk_fma_f16 v45, v45, v54, 0
	v_pk_fma_f16 v56, v44, v55, v45
	v_mov_b32_e32 v44, s21
	s_add_i32 s21, s17, 0x430
	ds_read2_b32 v[44:45], v44 offset1:1
	s_waitcnt lgkmcnt(0)
	v_pk_fma_f16 v7, v7, v44, v56
	v_pk_fma_f16 v7, v43, v45, v7
	v_cvt_f32_f16_e32 v43, v7
	v_cvt_f32_f16_sdwa v7, v7 dst_sel:DWORD dst_unused:UNUSED_PAD src0_sel:WORD_1
	v_add_f32_e32 v7, v43, v7
	v_fmac_f32_e32 v10, v7, v31
	v_pk_fma_f16 v7, v46, v54, 0
	v_pk_fma_f16 v7, v47, v55, v7
	v_pk_fma_f16 v7, v48, v44, v7
	v_pk_fma_f16 v7, v49, v45, v7
	v_cvt_f32_f16_e32 v43, v7
	v_cvt_f32_f16_sdwa v7, v7 dst_sel:DWORD dst_unused:UNUSED_PAD src0_sel:WORD_1
	v_add_f32_e32 v7, v43, v7
	v_fmac_f32_e32 v9, v7, v32
	v_pk_fma_f16 v7, v50, v54, 0
	v_pk_fma_f16 v7, v51, v55, v7
	;; [unrolled: 8-line block ×3, first 2 shown]
	v_pk_fma_f16 v7, v60, v44, v7
	ds_read2_b32 v[59:60], v6 offset0:14 offset1:15
	v_pk_fma_f16 v7, v61, v45, v7
	v_cvt_f32_f16_e32 v43, v7
	v_cvt_f32_f16_sdwa v7, v7 dst_sel:DWORD dst_unused:UNUSED_PAD src0_sel:WORD_1
	v_add_f32_e32 v7, v43, v7
	global_load_dwordx4 v[43:46], v[4:5], off
	v_fmac_f32_e32 v11, v7, v34
	s_waitcnt vmcnt(0)
	v_lshrrev_b32_e32 v7, 8, v43
	v_and_or_b32 v4, v43, s1, 0x64006400
	v_and_or_b32 v5, v43, s9, 0x64006400
	;; [unrolled: 1-line block ×4, first 2 shown]
	v_pk_add_f16 v58, v35, v4
	v_pk_fma_f16 v57, 0x2c00, v5, v39 op_sel_hi:[0,1,1]
	v_and_or_b32 v4, v44, s1, 0x64006400
	v_pk_add_f16 v55, v35, v43
	v_pk_fma_f16 v56, 0x2c00, v7, v39 op_sel_hi:[0,1,1]
	v_lshrrev_b32_e32 v7, 8, v44
	v_and_or_b32 v5, v44, s9, 0x64006400
	v_pk_add_f16 v51, v38, v4
	v_and_or_b32 v4, v45, s1, 0x64006400
	v_and_or_b32 v43, v7, s1, 0x64006400
	;; [unrolled: 1-line block ×3, first 2 shown]
	v_pk_fma_f16 v52, 0x2c00, v5, v42 op_sel_hi:[0,1,1]
	v_and_or_b32 v5, v45, s9, 0x64006400
	v_pk_add_f16 v47, v37, v4
	v_pk_add_f16 v53, v38, v43
	v_pk_fma_f16 v54, 0x2c00, v7, v42 op_sel_hi:[0,1,1]
	v_lshrrev_b32_e32 v7, 8, v45
	v_pk_fma_f16 v48, 0x2c00, v5, v41 op_sel_hi:[0,1,1]
	v_and_or_b32 v4, v46, s1, 0x64006400
	v_and_or_b32 v5, v46, s9, 0x64006400
	;; [unrolled: 1-line block ×4, first 2 shown]
	v_pk_fma_f16 v45, 0x2c00, v5, v40 op_sel_hi:[0,1,1]
	v_pk_add_f16 v49, v37, v43
	v_pk_fma_f16 v50, 0x2c00, v7, v41 op_sel_hi:[0,1,1]
	v_lshrrev_b32_e32 v7, 8, v46
	v_pk_add_f16 v46, v36, v4
	ds_read2_b32 v[4:5], v6 offset0:12 offset1:13
	v_and_or_b32 v43, v7, s1, 0x64006400
	v_and_or_b32 v7, v7, s9, 0x64006400
	v_pk_add_f16 v44, v36, v43
	v_pk_fma_f16 v43, 0x2c00, v7, v40 op_sel_hi:[0,1,1]
	s_waitcnt lgkmcnt(0)
	v_pk_fma_f16 v7, v58, v4, 0
	v_pk_fma_f16 v7, v57, v5, v7
	;; [unrolled: 1-line block ×4, first 2 shown]
	v_cvt_f32_f16_e32 v61, v7
	v_cvt_f32_f16_sdwa v7, v7 dst_sel:DWORD dst_unused:UNUSED_PAD src0_sel:WORD_1
	v_add_f32_e32 v7, v61, v7
	v_fmac_f32_e32 v27, v7, v31
	v_pk_fma_f16 v7, v51, v4, 0
	v_pk_fma_f16 v7, v52, v5, v7
	;; [unrolled: 1-line block ×4, first 2 shown]
	v_cvt_f32_f16_e32 v61, v7
	v_cvt_f32_f16_sdwa v7, v7 dst_sel:DWORD dst_unused:UNUSED_PAD src0_sel:WORD_1
	v_add_f32_e32 v7, v61, v7
	v_fmac_f32_e32 v28, v7, v32
	v_pk_fma_f16 v7, v47, v4, 0
	v_pk_fma_f16 v4, v46, v4, 0
	;; [unrolled: 1-line block ×8, first 2 shown]
	ds_read2_b32 v[59:60], v6 offset0:78 offset1:79
	v_cvt_f32_f16_e32 v61, v7
	v_cvt_f32_f16_e32 v5, v4
	v_cvt_f32_f16_sdwa v4, v4 dst_sel:DWORD dst_unused:UNUSED_PAD src0_sel:WORD_1
	v_cvt_f32_f16_sdwa v7, v7 dst_sel:DWORD dst_unused:UNUSED_PAD src0_sel:WORD_1
	v_add_f32_e32 v4, v5, v4
	v_add_f32_e32 v7, v61, v7
	v_fmac_f32_e32 v25, v4, v34
	ds_read2_b32 v[4:5], v6 offset0:76 offset1:77
	v_fmac_f32_e32 v26, v7, v33
	s_waitcnt lgkmcnt(0)
	v_pk_fma_f16 v7, v58, v4, 0
	v_pk_fma_f16 v7, v57, v5, v7
	;; [unrolled: 1-line block ×4, first 2 shown]
	v_cvt_f32_f16_e32 v61, v7
	v_cvt_f32_f16_sdwa v7, v7 dst_sel:DWORD dst_unused:UNUSED_PAD src0_sel:WORD_1
	v_add_f32_e32 v7, v61, v7
	v_fmac_f32_e32 v23, v7, v31
	v_pk_fma_f16 v7, v51, v4, 0
	v_pk_fma_f16 v7, v52, v5, v7
	;; [unrolled: 1-line block ×4, first 2 shown]
	v_cvt_f32_f16_e32 v61, v7
	v_cvt_f32_f16_sdwa v7, v7 dst_sel:DWORD dst_unused:UNUSED_PAD src0_sel:WORD_1
	v_add_f32_e32 v7, v61, v7
	v_fmac_f32_e32 v22, v7, v32
	v_pk_fma_f16 v7, v47, v4, 0
	v_pk_fma_f16 v4, v46, v4, 0
	;; [unrolled: 1-line block ×8, first 2 shown]
	ds_read2_b32 v[59:60], v6 offset0:142 offset1:143
	v_cvt_f32_f16_e32 v61, v7
	v_cvt_f32_f16_e32 v5, v4
	v_cvt_f32_f16_sdwa v4, v4 dst_sel:DWORD dst_unused:UNUSED_PAD src0_sel:WORD_1
	v_cvt_f32_f16_sdwa v7, v7 dst_sel:DWORD dst_unused:UNUSED_PAD src0_sel:WORD_1
	v_add_f32_e32 v4, v5, v4
	v_add_f32_e32 v7, v61, v7
	v_fmac_f32_e32 v20, v4, v34
	ds_read2_b32 v[4:5], v6 offset0:140 offset1:141
	v_fmac_f32_e32 v21, v7, v33
	s_waitcnt lgkmcnt(0)
	v_pk_fma_f16 v7, v58, v4, 0
	v_pk_fma_f16 v7, v57, v5, v7
	;; [unrolled: 1-line block ×4, first 2 shown]
	v_cvt_f32_f16_e32 v61, v7
	v_cvt_f32_f16_sdwa v7, v7 dst_sel:DWORD dst_unused:UNUSED_PAD src0_sel:WORD_1
	v_add_f32_e32 v7, v61, v7
	v_fmac_f32_e32 v19, v7, v31
	v_pk_fma_f16 v7, v51, v4, 0
	v_pk_fma_f16 v7, v52, v5, v7
	;; [unrolled: 1-line block ×4, first 2 shown]
	v_cvt_f32_f16_e32 v61, v7
	v_cvt_f32_f16_sdwa v7, v7 dst_sel:DWORD dst_unused:UNUSED_PAD src0_sel:WORD_1
	v_add_f32_e32 v7, v61, v7
	v_fmac_f32_e32 v18, v7, v32
	v_pk_fma_f16 v7, v47, v4, 0
	v_pk_fma_f16 v4, v46, v4, 0
	;; [unrolled: 1-line block ×8, first 2 shown]
	v_cvt_f32_f16_e32 v61, v7
	v_cvt_f32_f16_e32 v5, v4
	v_cvt_f32_f16_sdwa v4, v4 dst_sel:DWORD dst_unused:UNUSED_PAD src0_sel:WORD_1
	v_cvt_f32_f16_sdwa v7, v7 dst_sel:DWORD dst_unused:UNUSED_PAD src0_sel:WORD_1
	v_add_f32_e32 v4, v5, v4
	v_add_f32_e32 v7, v61, v7
	v_fmac_f32_e32 v16, v4, v34
	ds_read2_b32 v[4:5], v6 offset0:204 offset1:205
	v_fmac_f32_e32 v17, v7, v33
	s_waitcnt lgkmcnt(0)
	v_pk_fma_f16 v7, v58, v4, 0
	v_pk_fma_f16 v59, v57, v5, v7
	ds_read2_b32 v[6:7], v6 offset0:206 offset1:207
	s_waitcnt lgkmcnt(0)
	v_pk_fma_f16 v59, v55, v6, v59
	v_pk_fma_f16 v59, v56, v7, v59
	v_cvt_f32_f16_e32 v60, v59
	v_cvt_f32_f16_sdwa v59, v59 dst_sel:DWORD dst_unused:UNUSED_PAD src0_sel:WORD_1
	v_add_f32_e32 v59, v60, v59
	v_fmac_f32_e32 v15, v59, v31
	v_pk_fma_f16 v59, v51, v4, 0
	v_pk_fma_f16 v59, v52, v5, v59
	;; [unrolled: 1-line block ×4, first 2 shown]
	v_cvt_f32_f16_e32 v60, v59
	v_cvt_f32_f16_sdwa v59, v59 dst_sel:DWORD dst_unused:UNUSED_PAD src0_sel:WORD_1
	v_add_f32_e32 v59, v60, v59
	v_fmac_f32_e32 v14, v59, v32
	v_pk_fma_f16 v59, v47, v4, 0
	v_pk_fma_f16 v4, v46, v4, 0
	;; [unrolled: 1-line block ×8, first 2 shown]
	v_cvt_f32_f16_e32 v60, v59
	v_cvt_f32_f16_e32 v5, v4
	v_cvt_f32_f16_sdwa v4, v4 dst_sel:DWORD dst_unused:UNUSED_PAD src0_sel:WORD_1
	v_cvt_f32_f16_sdwa v59, v59 dst_sel:DWORD dst_unused:UNUSED_PAD src0_sel:WORD_1
	v_add_f32_e32 v4, v5, v4
	v_add_f32_e32 v59, v60, v59
	v_fmac_f32_e32 v12, v4, v34
	v_mov_b32_e32 v4, s21
	s_add_i32 s21, s17, 0x438
	v_fmac_f32_e32 v13, v59, v33
	s_add_i32 s17, s17, 64
	s_cmp_ge_i32 s18, s19
	ds_read2_b32 v[4:5], v4 offset1:1
	s_waitcnt lgkmcnt(0)
	v_pk_fma_f16 v6, v58, v4, 0
	v_pk_fma_f16 v51, v51, v4, 0
	;; [unrolled: 1-line block ×5, first 2 shown]
	v_mov_b32_e32 v6, s21
	v_pk_fma_f16 v51, v52, v5, v51
	v_pk_fma_f16 v47, v48, v5, v47
	;; [unrolled: 1-line block ×3, first 2 shown]
	ds_read2_b32 v[6:7], v6 offset1:1
	s_waitcnt lgkmcnt(0)
	v_pk_fma_f16 v55, v55, v6, v57
	v_pk_fma_f16 v51, v53, v6, v51
	;; [unrolled: 1-line block ×8, first 2 shown]
	v_cvt_f32_f16_e32 v56, v55
	v_cvt_f32_f16_sdwa v55, v55 dst_sel:DWORD dst_unused:UNUSED_PAD src0_sel:WORD_1
	v_cvt_f32_f16_e32 v52, v51
	v_cvt_f32_f16_sdwa v51, v51 dst_sel:DWORD dst_unused:UNUSED_PAD src0_sel:WORD_1
	;; [unrolled: 2-line block ×4, first 2 shown]
	v_add_f32_e32 v55, v56, v55
	v_add_f32_e32 v51, v52, v51
	;; [unrolled: 1-line block ×4, first 2 shown]
	v_fmac_f32_e32 v10, v55, v31
	v_fmac_f32_e32 v9, v51, v32
	;; [unrolled: 1-line block ×4, first 2 shown]
	s_cbranch_scc1 .LBB33_18
.LBB33_16:                              ; =>This Inner Loop Header: Depth=1
	s_cmp_lg_u32 s18, s8
	s_cbranch_scc1 .LBB33_15
; %bb.17:                               ;   in Loop: Header=BB33_16 Depth=1
	s_add_i32 s16, s16, 1
	s_add_i32 s8, s8, s6
	s_mul_i32 s21, s16, s0
	s_ashr_i32 s22, s21, 31
	v_add_nc_u32_e32 v6, s21, v1
	s_lshr_b32 s22, s22, 29
	s_add_i32 s22, s21, s22
	v_ashrrev_i32_e32 v7, 31, v6
	s_ashr_i32 s22, s22, 3
	v_add_nc_u32_e32 v4, s22, v24
	v_lshlrev_b64 v[6:7], 1, v[6:7]
	v_ashrrev_i32_e32 v5, 31, v4
	v_lshlrev_b64 v[4:5], 2, v[4:5]
	v_add_co_u32 v4, vcc_lo, s10, v4
	v_add_co_ci_u32_e64 v5, null, s11, v5, vcc_lo
	v_add_co_u32 v6, vcc_lo, s12, v6
	v_add_co_ci_u32_e64 v7, null, s13, v7, vcc_lo
	global_load_dword v33, v[4:5], off
	global_load_dwordx2 v[4:5], v[6:7], off
	s_waitcnt vmcnt(1)
	v_lshrrev_b32_e32 v6, v29, v33
	s_waitcnt vmcnt(0)
	v_cvt_f32_f16_e32 v31, v4
	v_cvt_f32_f16_sdwa v32, v4 dst_sel:DWORD dst_unused:UNUSED_PAD src0_sel:WORD_1
	v_bfe_u32 v4, v33, v29, 4
	v_cvt_f32_f16_e32 v33, v5
	v_bfe_u32 v7, v6, 4, 4
	v_bfe_u32 v35, v6, 8, 4
	;; [unrolled: 1-line block ×3, first 2 shown]
	v_add_nc_u32_e32 v4, v4, v30
	v_cvt_f32_f16_sdwa v34, v5 dst_sel:DWORD dst_unused:UNUSED_PAD src0_sel:WORD_1
	v_add_nc_u32_e32 v5, v7, v30
	v_add_nc_u32_e32 v7, v35, v30
	;; [unrolled: 1-line block ×3, first 2 shown]
	v_cvt_f32_ubyte0_e32 v36, v4
	v_mad_u32_u24 v35, 0x10001, v4, s20
	v_cvt_f32_ubyte0_e32 v4, v5
	v_cvt_f32_ubyte0_e32 v37, v7
	;; [unrolled: 1-line block ×3, first 2 shown]
	v_cvt_f16_f32_e32 v36, v36
	v_mad_u32_u24 v38, 0x10001, v5, s20
	v_cvt_f16_f32_e32 v4, v4
	v_cvt_f16_f32_e32 v5, v37
	;; [unrolled: 1-line block ×3, first 2 shown]
	v_mad_u32_u24 v37, 0x10001, v7, s20
	v_sub_f16_e32 v7, 0xd400, v36
	v_sub_f16_e32 v4, 0xd400, v4
	;; [unrolled: 1-line block ×4, first 2 shown]
	v_mad_u32_u24 v36, 0x10001, v6, s20
	v_mul_u32_u24_sdwa v39, v7, v0 dst_sel:DWORD dst_unused:UNUSED_PAD src0_sel:WORD_0 src1_sel:DWORD
	v_mul_u32_u24_sdwa v42, v4, v0 dst_sel:DWORD dst_unused:UNUSED_PAD src0_sel:WORD_0 src1_sel:DWORD
	;; [unrolled: 1-line block ×4, first 2 shown]
	s_branch .LBB33_15
.LBB33_18:
	v_mad_u64_u32 v[0:1], null, s7, s0, v[1:2]
	v_cvt_f16_f32_e32 v3, v27
	v_cvt_f16_f32_e32 v5, v28
	s_mov_b32 s1, 0
	v_pack_b32_f16 v5, v3, v5
	v_ashrrev_i32_e32 v1, 31, v0
	v_lshlrev_b64 v[1:2], 1, v[0:1]
	v_add_co_u32 v1, vcc_lo, s14, v1
	v_add_co_ci_u32_e64 v2, null, s15, v2, vcc_lo
	global_load_dword v4, v[1:2], off
.LBB33_19:                              ; =>This Inner Loop Header: Depth=1
	s_waitcnt vmcnt(0)
	v_pk_add_f16 v3, v5, v4
	global_atomic_cmpswap v3, v[1:2], v[3:4], off glc
	s_waitcnt vmcnt(0)
	v_cmp_eq_u32_e32 vcc_lo, v4, v3
	v_mov_b32_e32 v4, v3
	s_or_b32 s1, vcc_lo, s1
	s_andn2_b32 exec_lo, exec_lo, s1
	s_cbranch_execnz .LBB33_19
; %bb.20:
	s_or_b32 exec_lo, exec_lo, s1
	global_load_dword v4, v[1:2], off offset:4
	v_cvt_f16_f32_e32 v3, v26
	v_cvt_f16_f32_e32 v5, v25
	s_mov_b32 s1, 0
	v_pack_b32_f16 v5, v3, v5
.LBB33_21:                              ; =>This Inner Loop Header: Depth=1
	s_waitcnt vmcnt(0)
	v_pk_add_f16 v3, v5, v4
	global_atomic_cmpswap v3, v[1:2], v[3:4], off offset:4 glc
	s_waitcnt vmcnt(0)
	v_cmp_eq_u32_e32 vcc_lo, v4, v3
	v_mov_b32_e32 v4, v3
	s_or_b32 s1, vcc_lo, s1
	s_andn2_b32 exec_lo, exec_lo, s1
	s_cbranch_execnz .LBB33_21
; %bb.22:
	s_or_b32 exec_lo, exec_lo, s1
	v_add_nc_u32_e32 v0, s0, v0
	v_cvt_f16_f32_e32 v3, v23
	v_cvt_f16_f32_e32 v5, v22
	s_mov_b32 s1, 0
	v_ashrrev_i32_e32 v1, 31, v0
	v_pack_b32_f16 v5, v3, v5
	v_lshlrev_b64 v[1:2], 1, v[0:1]
	v_add_co_u32 v1, vcc_lo, s14, v1
	v_add_co_ci_u32_e64 v2, null, s15, v2, vcc_lo
	global_load_dword v4, v[1:2], off
.LBB33_23:                              ; =>This Inner Loop Header: Depth=1
	s_waitcnt vmcnt(0)
	v_pk_add_f16 v3, v5, v4
	global_atomic_cmpswap v3, v[1:2], v[3:4], off glc
	s_waitcnt vmcnt(0)
	v_cmp_eq_u32_e32 vcc_lo, v4, v3
	v_mov_b32_e32 v4, v3
	s_or_b32 s1, vcc_lo, s1
	s_andn2_b32 exec_lo, exec_lo, s1
	s_cbranch_execnz .LBB33_23
; %bb.24:
	s_or_b32 exec_lo, exec_lo, s1
	global_load_dword v4, v[1:2], off offset:4
	v_cvt_f16_f32_e32 v3, v21
	v_cvt_f16_f32_e32 v5, v20
	s_mov_b32 s1, 0
	v_pack_b32_f16 v5, v3, v5
.LBB33_25:                              ; =>This Inner Loop Header: Depth=1
	s_waitcnt vmcnt(0)
	v_pk_add_f16 v3, v5, v4
	global_atomic_cmpswap v3, v[1:2], v[3:4], off offset:4 glc
	s_waitcnt vmcnt(0)
	v_cmp_eq_u32_e32 vcc_lo, v4, v3
	v_mov_b32_e32 v4, v3
	s_or_b32 s1, vcc_lo, s1
	s_andn2_b32 exec_lo, exec_lo, s1
	s_cbranch_execnz .LBB33_25
; %bb.26:
	s_or_b32 exec_lo, exec_lo, s1
	v_add_nc_u32_e32 v0, s0, v0
	v_cvt_f16_f32_e32 v3, v19
	v_cvt_f16_f32_e32 v5, v18
	s_mov_b32 s1, 0
	v_ashrrev_i32_e32 v1, 31, v0
	v_pack_b32_f16 v5, v3, v5
	;; [unrolled: 39-line block ×4, first 2 shown]
	v_lshlrev_b64 v[0:1], 1, v[0:1]
	v_add_co_u32 v0, vcc_lo, s14, v0
	v_add_co_ci_u32_e64 v1, null, s15, v1, vcc_lo
	global_load_dword v3, v[0:1], off
.LBB33_35:                              ; =>This Inner Loop Header: Depth=1
	s_waitcnt vmcnt(0)
	v_pk_add_f16 v2, v4, v3
	global_atomic_cmpswap v2, v[0:1], v[2:3], off glc
	s_waitcnt vmcnt(0)
	v_cmp_eq_u32_e32 vcc_lo, v3, v2
	v_mov_b32_e32 v3, v2
	s_or_b32 s0, vcc_lo, s0
	s_andn2_b32 exec_lo, exec_lo, s0
	s_cbranch_execnz .LBB33_35
; %bb.36:
	s_or_b32 exec_lo, exec_lo, s0
	global_load_dword v3, v[0:1], off offset:4
	v_cvt_f16_f32_e32 v2, v8
	v_cvt_f16_f32_e32 v4, v11
	s_mov_b32 s0, 0
	v_pack_b32_f16 v4, v2, v4
.LBB33_37:                              ; =>This Inner Loop Header: Depth=1
	s_waitcnt vmcnt(0)
	v_pk_add_f16 v2, v4, v3
	global_atomic_cmpswap v2, v[0:1], v[2:3], off offset:4 glc
	s_waitcnt vmcnt(0)
	v_cmp_eq_u32_e32 vcc_lo, v3, v2
	v_mov_b32_e32 v3, v2
	s_or_b32 s0, vcc_lo, s0
	s_andn2_b32 exec_lo, exec_lo, s0
	s_cbranch_execnz .LBB33_37
.LBB33_38:
	s_endpgm
	.section	.rodata,"a",@progbits
	.p2align	6, 0x0
	.amdhsa_kernel _ZN4vllm4gptq33gemm_half_q_half_gptq_4bit_kernelILb1ELi5EEEvPK6__halfPKjS6_S4_PS2_iiiibPKi
		.amdhsa_group_segment_fixed_size 1280
		.amdhsa_private_segment_fixed_size 0
		.amdhsa_kernarg_size 72
		.amdhsa_user_sgpr_count 6
		.amdhsa_user_sgpr_private_segment_buffer 1
		.amdhsa_user_sgpr_dispatch_ptr 0
		.amdhsa_user_sgpr_queue_ptr 0
		.amdhsa_user_sgpr_kernarg_segment_ptr 1
		.amdhsa_user_sgpr_dispatch_id 0
		.amdhsa_user_sgpr_flat_scratch_init 0
		.amdhsa_user_sgpr_private_segment_size 0
		.amdhsa_wavefront_size32 1
		.amdhsa_uses_dynamic_stack 0
		.amdhsa_system_sgpr_private_segment_wavefront_offset 0
		.amdhsa_system_sgpr_workgroup_id_x 1
		.amdhsa_system_sgpr_workgroup_id_y 1
		.amdhsa_system_sgpr_workgroup_id_z 1
		.amdhsa_system_sgpr_workgroup_info 0
		.amdhsa_system_vgpr_workitem_id 0
		.amdhsa_next_free_vgpr 64
		.amdhsa_next_free_sgpr 24
		.amdhsa_reserve_vcc 1
		.amdhsa_reserve_flat_scratch 0
		.amdhsa_float_round_mode_32 0
		.amdhsa_float_round_mode_16_64 0
		.amdhsa_float_denorm_mode_32 3
		.amdhsa_float_denorm_mode_16_64 3
		.amdhsa_dx10_clamp 1
		.amdhsa_ieee_mode 1
		.amdhsa_fp16_overflow 0
		.amdhsa_workgroup_processor_mode 1
		.amdhsa_memory_ordered 1
		.amdhsa_forward_progress 1
		.amdhsa_shared_vgpr_count 0
		.amdhsa_exception_fp_ieee_invalid_op 0
		.amdhsa_exception_fp_denorm_src 0
		.amdhsa_exception_fp_ieee_div_zero 0
		.amdhsa_exception_fp_ieee_overflow 0
		.amdhsa_exception_fp_ieee_underflow 0
		.amdhsa_exception_fp_ieee_inexact 0
		.amdhsa_exception_int_div_zero 0
	.end_amdhsa_kernel
	.section	.text._ZN4vllm4gptq33gemm_half_q_half_gptq_4bit_kernelILb1ELi5EEEvPK6__halfPKjS6_S4_PS2_iiiibPKi,"axG",@progbits,_ZN4vllm4gptq33gemm_half_q_half_gptq_4bit_kernelILb1ELi5EEEvPK6__halfPKjS6_S4_PS2_iiiibPKi,comdat
.Lfunc_end33:
	.size	_ZN4vllm4gptq33gemm_half_q_half_gptq_4bit_kernelILb1ELi5EEEvPK6__halfPKjS6_S4_PS2_iiiibPKi, .Lfunc_end33-_ZN4vllm4gptq33gemm_half_q_half_gptq_4bit_kernelILb1ELi5EEEvPK6__halfPKjS6_S4_PS2_iiiibPKi
                                        ; -- End function
	.set _ZN4vllm4gptq33gemm_half_q_half_gptq_4bit_kernelILb1ELi5EEEvPK6__halfPKjS6_S4_PS2_iiiibPKi.num_vgpr, 64
	.set _ZN4vllm4gptq33gemm_half_q_half_gptq_4bit_kernelILb1ELi5EEEvPK6__halfPKjS6_S4_PS2_iiiibPKi.num_agpr, 0
	.set _ZN4vllm4gptq33gemm_half_q_half_gptq_4bit_kernelILb1ELi5EEEvPK6__halfPKjS6_S4_PS2_iiiibPKi.numbered_sgpr, 24
	.set _ZN4vllm4gptq33gemm_half_q_half_gptq_4bit_kernelILb1ELi5EEEvPK6__halfPKjS6_S4_PS2_iiiibPKi.num_named_barrier, 0
	.set _ZN4vllm4gptq33gemm_half_q_half_gptq_4bit_kernelILb1ELi5EEEvPK6__halfPKjS6_S4_PS2_iiiibPKi.private_seg_size, 0
	.set _ZN4vllm4gptq33gemm_half_q_half_gptq_4bit_kernelILb1ELi5EEEvPK6__halfPKjS6_S4_PS2_iiiibPKi.uses_vcc, 1
	.set _ZN4vllm4gptq33gemm_half_q_half_gptq_4bit_kernelILb1ELi5EEEvPK6__halfPKjS6_S4_PS2_iiiibPKi.uses_flat_scratch, 0
	.set _ZN4vllm4gptq33gemm_half_q_half_gptq_4bit_kernelILb1ELi5EEEvPK6__halfPKjS6_S4_PS2_iiiibPKi.has_dyn_sized_stack, 0
	.set _ZN4vllm4gptq33gemm_half_q_half_gptq_4bit_kernelILb1ELi5EEEvPK6__halfPKjS6_S4_PS2_iiiibPKi.has_recursion, 0
	.set _ZN4vllm4gptq33gemm_half_q_half_gptq_4bit_kernelILb1ELi5EEEvPK6__halfPKjS6_S4_PS2_iiiibPKi.has_indirect_call, 0
	.section	.AMDGPU.csdata,"",@progbits
; Kernel info:
; codeLenInByte = 9112
; TotalNumSgprs: 26
; NumVgprs: 64
; ScratchSize: 0
; MemoryBound: 0
; FloatMode: 240
; IeeeMode: 1
; LDSByteSize: 1280 bytes/workgroup (compile time only)
; SGPRBlocks: 0
; VGPRBlocks: 7
; NumSGPRsForWavesPerEU: 26
; NumVGPRsForWavesPerEU: 64
; Occupancy: 16
; WaveLimiterHint : 0
; COMPUTE_PGM_RSRC2:SCRATCH_EN: 0
; COMPUTE_PGM_RSRC2:USER_SGPR: 6
; COMPUTE_PGM_RSRC2:TRAP_HANDLER: 0
; COMPUTE_PGM_RSRC2:TGID_X_EN: 1
; COMPUTE_PGM_RSRC2:TGID_Y_EN: 1
; COMPUTE_PGM_RSRC2:TGID_Z_EN: 1
; COMPUTE_PGM_RSRC2:TIDIG_COMP_CNT: 0
	.section	.text._ZN4vllm4gptq33gemm_half_q_half_gptq_8bit_kernelILb1ELi5EEEvPK6__halfPKjS6_S4_PS2_iiiibPKi,"axG",@progbits,_ZN4vllm4gptq33gemm_half_q_half_gptq_8bit_kernelILb1ELi5EEEvPK6__halfPKjS6_S4_PS2_iiiibPKi,comdat
	.protected	_ZN4vllm4gptq33gemm_half_q_half_gptq_8bit_kernelILb1ELi5EEEvPK6__halfPKjS6_S4_PS2_iiiibPKi ; -- Begin function _ZN4vllm4gptq33gemm_half_q_half_gptq_8bit_kernelILb1ELi5EEEvPK6__halfPKjS6_S4_PS2_iiiibPKi
	.globl	_ZN4vllm4gptq33gemm_half_q_half_gptq_8bit_kernelILb1ELi5EEEvPK6__halfPKjS6_S4_PS2_iiiibPKi
	.p2align	8
	.type	_ZN4vllm4gptq33gemm_half_q_half_gptq_8bit_kernelILb1ELi5EEEvPK6__halfPKjS6_S4_PS2_iiiibPKi,@function
_ZN4vllm4gptq33gemm_half_q_half_gptq_8bit_kernelILb1ELi5EEEvPK6__halfPKjS6_S4_PS2_iiiibPKi: ; @_ZN4vllm4gptq33gemm_half_q_half_gptq_8bit_kernelILb1ELi5EEEvPK6__halfPKjS6_S4_PS2_iiiibPKi
; %bb.0:
	s_load_dwordx4 s[0:3], s[4:5], 0x2c
	s_lshl_b32 s18, s8, 7
	s_mul_i32 s7, s7, 5
	s_add_i32 s8, s18, 0x80
	s_mov_b32 s20, exec_lo
	v_cvt_f64_u32_e32 v[1:2], s8
	s_load_dwordx8 s[8:15], s[4:5], 0x8
	s_waitcnt lgkmcnt(0)
	v_cvt_f64_i32_e32 v[3:4], s1
	v_min_f64 v[1:2], v[1:2], v[3:4]
	v_cvt_i32_f64_e32 v2, v[1:2]
	v_add_nc_u32_e32 v1, s18, v0
	v_readfirstlane_b32 s19, v2
	v_cmpx_lt_u32_e64 v1, v2
	s_cbranch_execz .LBB34_12
; %bb.1:
	s_clause 0x1
	s_load_dwordx2 s[16:17], s[4:5], 0x40
	s_load_dwordx2 s[4:5], s[4:5], 0x0
	v_mov_b32_e32 v2, 0
	v_lshlrev_b64 v[3:4], 2, v[1:2]
	v_mov_b32_e32 v6, v2
	v_mov_b32_e32 v5, v1
	s_waitcnt lgkmcnt(0)
	v_add_co_u32 v3, vcc_lo, s16, v3
	v_add_co_ci_u32_e64 v4, null, s17, v4, vcc_lo
	s_cmp_lg_u64 s[16:17], 0
	s_cselect_b32 s21, -1, 0
	s_cmp_eq_u64 s[16:17], 0
	s_cbranch_scc1 .LBB34_3
; %bb.2:
	global_load_dword v5, v[3:4], off
	s_waitcnt vmcnt(0)
	v_ashrrev_i32_e32 v6, 31, v5
.LBB34_3:
	s_mul_i32 s16, s7, s1
	v_lshlrev_b64 v[5:6], 1, v[5:6]
	s_ashr_i32 s17, s16, 31
	v_cndmask_b32_e64 v8, 0, 1, s21
	s_lshl_b64 s[22:23], s[16:17], 1
	v_lshlrev_b32_e32 v7, 1, v0
	s_add_u32 s17, s4, s22
	s_addc_u32 s22, s5, s23
	v_add_co_u32 v5, vcc_lo, s17, v5
	v_add_co_ci_u32_e64 v6, null, s22, v6, vcc_lo
	s_andn2_b32 vcc_lo, exec_lo, s21
	global_load_ushort v9, v[5:6], off
	v_mov_b32_e32 v6, v2
	v_mov_b32_e32 v5, v1
	s_waitcnt vmcnt(0)
	ds_write_b16 v7, v9
	s_cbranch_vccnz .LBB34_5
; %bb.4:
	global_load_dword v5, v[3:4], off
	s_waitcnt vmcnt(0)
	v_ashrrev_i32_e32 v6, 31, v5
.LBB34_5:
	s_add_i32 s16, s16, s1
	v_lshlrev_b64 v[5:6], 1, v[5:6]
	s_ashr_i32 s17, s16, 31
	s_lshl_b64 s[22:23], s[16:17], 1
	s_add_u32 s17, s4, s22
	s_addc_u32 s21, s5, s23
	v_add_co_u32 v5, vcc_lo, s17, v5
	v_add_co_ci_u32_e64 v6, null, s21, v6, vcc_lo
	v_cmp_ne_u32_e32 vcc_lo, 1, v8
	global_load_ushort v9, v[5:6], off
	v_mov_b32_e32 v6, v2
	v_mov_b32_e32 v5, v1
	s_waitcnt vmcnt(0)
	ds_write_b16 v7, v9 offset:256
	s_cbranch_vccnz .LBB34_7
; %bb.6:
	global_load_dword v5, v[3:4], off
	s_waitcnt vmcnt(0)
	v_ashrrev_i32_e32 v6, 31, v5
.LBB34_7:
	s_add_i32 s16, s16, s1
	v_lshlrev_b64 v[5:6], 1, v[5:6]
	s_ashr_i32 s17, s16, 31
	s_lshl_b64 s[22:23], s[16:17], 1
	s_add_u32 s17, s4, s22
	s_addc_u32 s21, s5, s23
	v_add_co_u32 v5, vcc_lo, s17, v5
	v_add_co_ci_u32_e64 v6, null, s21, v6, vcc_lo
	v_cmp_ne_u32_e32 vcc_lo, 1, v8
	global_load_ushort v9, v[5:6], off
	v_mov_b32_e32 v6, v2
	v_mov_b32_e32 v5, v1
	s_waitcnt vmcnt(0)
	ds_write_b16 v7, v9 offset:512
	s_cbranch_vccnz .LBB34_9
; %bb.8:
	global_load_dword v5, v[3:4], off
	s_waitcnt vmcnt(0)
	v_ashrrev_i32_e32 v6, 31, v5
.LBB34_9:
	s_add_i32 s16, s16, s1
	v_lshlrev_b64 v[5:6], 1, v[5:6]
	s_ashr_i32 s17, s16, 31
	s_lshl_b64 s[22:23], s[16:17], 1
	s_add_u32 s17, s4, s22
	s_addc_u32 s21, s5, s23
	v_add_co_u32 v5, vcc_lo, s17, v5
	v_add_co_ci_u32_e64 v6, null, s21, v6, vcc_lo
	v_cmp_ne_u32_e32 vcc_lo, 1, v8
	global_load_ushort v5, v[5:6], off
	s_waitcnt vmcnt(0)
	ds_write_b16 v7, v5 offset:768
	s_cbranch_vccnz .LBB34_11
; %bb.10:
	global_load_dword v1, v[3:4], off
	s_waitcnt vmcnt(0)
	v_ashrrev_i32_e32 v2, 31, v1
.LBB34_11:
	s_add_i32 s16, s16, s1
	v_lshlrev_b64 v[1:2], 1, v[1:2]
	s_ashr_i32 s17, s16, 31
	s_lshl_b64 s[16:17], s[16:17], 1
	s_add_u32 s4, s4, s16
	s_addc_u32 s5, s5, s17
	v_add_co_u32 v1, vcc_lo, s4, v1
	v_add_co_ci_u32_e64 v2, null, s5, v2, vcc_lo
	global_load_ushort v1, v[1:2], off
	s_waitcnt vmcnt(0)
	ds_write_b16 v7, v1 offset:1024
.LBB34_12:
	s_or_b32 exec_lo, exec_lo, s20
	v_lshlrev_b32_e32 v0, 2, v0
	s_mov_b32 s4, exec_lo
	v_lshl_add_u32 v16, s6, 9, v0
	v_cmpx_gt_i32_e64 s0, v16
	s_cbranch_execz .LBB34_38
; %bb.13:
	s_abs_i32 s4, s2
	v_mov_b32_e32 v15, 0
	v_cvt_f32_u32_e32 v0, s4
	v_mov_b32_e32 v14, 0
	v_mov_b32_e32 v23, 0
	;; [unrolled: 1-line block ×4, first 2 shown]
	v_rcp_iflag_f32_e32 v0, v0
	v_mov_b32_e32 v34, 0
	v_mov_b32_e32 v37, 0
	v_mov_b32_e32 v36, 0
	v_mov_b32_e32 v44, 0
	v_mov_b32_e32 v38, 0
	s_cmp_ge_i32 s18, s19
	s_mov_b32 s6, 0
	s_waitcnt lgkmcnt(0)
	s_barrier
	v_mul_f32_e32 v0, 0x4f7ffffe, v0
	buffer_gl0_inv
	v_cvt_u32_f32_e32 v0, v0
	v_readfirstlane_b32 s5, v0
	s_cbranch_scc1 .LBB34_18
; %bb.14:
	s_sub_i32 s16, 0, s4
	s_abs_i32 s17, s1
	s_mul_i32 s16, s16, s5
	s_ashr_i32 s1, s1, 31
	s_mul_hi_u32 s16, s5, s16
	s_ashr_i32 s2, s2, 31
	s_add_i32 s5, s5, s16
	s_xor_b32 s1, s1, s2
	s_mul_hi_u32 s5, s17, s5
	v_ashrrev_i32_e32 v24, 2, v16
	s_mul_i32 s16, s5, s4
	v_ashrrev_i32_e32 v17, 31, v16
	s_sub_i32 s2, s17, s16
	s_add_i32 s16, s5, 1
	s_sub_i32 s17, s2, s4
	s_cmp_ge_u32 s2, s4
	v_mov_b32_e32 v38, 0
	s_cselect_b32 s5, s16, s5
	s_cselect_b32 s2, s17, s2
	s_add_i32 s16, s5, 1
	s_cmp_ge_u32 s2, s4
	v_mov_b32_e32 v44, 0
	s_cselect_b32 s2, s16, s5
	v_mov_b32_e32 v36, 0
	s_xor_b32 s2, s2, s1
	v_mov_b32_e32 v37, 0
	s_sub_i32 s16, s2, s1
	s_bitcmp1_b32 s3, 0
	v_cvt_f32_u32_e32 v0, s16
	s_cselect_b32 s2, -1, 0
	s_sub_i32 s3, 0, s16
	s_xor_b32 s4, s2, -1
	v_mov_b32_e32 v34, 0
	v_rcp_iflag_f32_e32 v0, v0
	v_mov_b32_e32 v35, 0
	v_mov_b32_e32 v22, 0
	;; [unrolled: 1-line block ×5, first 2 shown]
	v_mul_f32_e32 v0, 0x4f7ffffe, v0
	v_cvt_u32_f32_e32 v0, v0
	v_readfirstlane_b32 s1, v0
	s_mul_i32 s3, s3, s1
	s_mul_hi_u32 s3, s1, s3
	s_add_i32 s1, s1, s3
	s_mul_hi_u32 s1, s18, s1
	s_mul_i32 s3, s1, s16
	s_sub_i32 s2, s18, s3
	s_add_i32 s3, s1, 1
	s_sub_i32 s5, s2, s16
	s_cmp_ge_u32 s2, s16
	s_cselect_b32 s1, s3, s1
	s_cselect_b32 s2, s5, s2
	s_add_i32 s3, s1, 1
	s_cmp_ge_u32 s2, s16
	s_cselect_b32 s17, s3, s1
	s_mul_i32 s1, s17, s0
	s_ashr_i32 s2, s1, 31
	v_add_nc_u32_e32 v2, s1, v16
	s_lshr_b32 s2, s2, 30
	s_add_i32 s2, s1, s2
	s_lshr_b32 s1, s18, 2
	s_ashr_i32 s2, s2, 2
	v_ashrrev_i32_e32 v3, 31, v2
	v_add_nc_u32_e32 v0, s2, v24
	s_mul_i32 s2, s0, s1
	s_ashr_i32 s3, s2, 31
	v_lshlrev_b64 v[2:3], 1, v[2:3]
	v_ashrrev_i32_e32 v1, 31, v0
	s_lshl_b64 s[2:3], s[2:3], 2
	s_add_u32 s2, s8, s2
	s_addc_u32 s3, s9, s3
	v_lshlrev_b64 v[0:1], 2, v[0:1]
	s_ashr_i32 s1, s0, 31
	s_add_i32 s8, s16, s18
	v_add_co_u32 v0, vcc_lo, s10, v0
	v_add_co_ci_u32_e64 v1, null, s11, v1, vcc_lo
	global_load_dword v4, v[0:1], off
	v_add_co_u32 v0, vcc_lo, s12, v2
	v_add_co_ci_u32_e64 v1, null, s13, v3, vcc_lo
	global_load_dwordx2 v[18:19], v[0:1], off
	v_lshlrev_b64 v[0:1], 2, v[16:17]
	v_cndmask_b32_e64 v17, 0, 1, s4
	s_lshl_b64 s[4:5], s[0:1], 2
	v_add_co_u32 v20, vcc_lo, s2, v0
	v_add_co_ci_u32_e64 v21, null, s3, v1, vcc_lo
	s_lshl_b64 s[2:3], s[0:1], 5
	s_waitcnt vmcnt(1)
	v_and_b32_e32 v25, 0xff, v4
	v_bfe_u32 v26, v4, 8, 8
	v_bfe_u32 v27, v4, 16, 8
	v_lshrrev_b32_e32 v28, 24, v4
	s_branch .LBB34_16
.LBB34_15:                              ;   in Loop: Header=BB34_16 Depth=1
	global_load_dwordx4 v[4:7], v[20:21], off
	v_add_co_u32 v12, vcc_lo, v20, s4
	v_add_co_ci_u32_e64 v13, null, s5, v21, vcc_lo
	v_add_nc_u32_e32 v33, v25, v17
	v_add_nc_u32_e32 v32, v26, v17
	;; [unrolled: 1-line block ×3, first 2 shown]
	global_load_dwordx4 v[0:3], v[12:13], off
	v_add_nc_u32_e32 v30, v28, v17
	v_mov_b32_e32 v29, s6
	v_add_co_u32 v12, vcc_lo, v12, s4
	v_add_co_ci_u32_e64 v13, null, s5, v13, vcc_lo
	s_add_i32 s18, s18, 32
	s_add_i32 s6, s6, 64
	s_cmp_ge_i32 s18, s19
	s_waitcnt vmcnt(1)
	v_sub_nc_u32_sdwa v8, v4, v33 dst_sel:DWORD dst_unused:UNUSED_PAD src0_sel:BYTE_0 src1_sel:DWORD
	v_cvt_f32_i32_e32 v8, v8
	v_cvt_f16_f32_e32 v39, v8
	v_sub_nc_u32_sdwa v8, v4, v33 dst_sel:DWORD dst_unused:UNUSED_PAD src0_sel:BYTE_1 src1_sel:DWORD
	v_cvt_f32_i32_e32 v8, v8
	v_cvt_f16_f32_e32 v40, v8
	v_sub_nc_u32_sdwa v8, v4, v33 dst_sel:DWORD dst_unused:UNUSED_PAD src0_sel:BYTE_2 src1_sel:DWORD
	v_sub_nc_u32_sdwa v4, v4, v33 dst_sel:DWORD dst_unused:UNUSED_PAD src0_sel:BYTE_3 src1_sel:DWORD
	v_cvt_f32_i32_e32 v8, v8
	v_cvt_f32_i32_e32 v4, v4
	v_cvt_f16_f32_e32 v41, v8
	v_cvt_f16_f32_e32 v42, v4
	s_waitcnt vmcnt(0)
	v_sub_nc_u32_sdwa v4, v0, v33 dst_sel:DWORD dst_unused:UNUSED_PAD src0_sel:BYTE_0 src1_sel:DWORD
	v_cvt_f32_i32_e32 v4, v4
	v_cvt_f16_f32_e32 v43, v4
	v_sub_nc_u32_sdwa v4, v0, v33 dst_sel:DWORD dst_unused:UNUSED_PAD src0_sel:BYTE_1 src1_sel:DWORD
	v_cvt_f32_i32_e32 v4, v4
	v_cvt_f16_f32_e32 v45, v4
	v_sub_nc_u32_sdwa v4, v0, v33 dst_sel:DWORD dst_unused:UNUSED_PAD src0_sel:BYTE_2 src1_sel:DWORD
	v_sub_nc_u32_sdwa v0, v0, v33 dst_sel:DWORD dst_unused:UNUSED_PAD src0_sel:BYTE_3 src1_sel:DWORD
	v_cvt_f32_i32_e32 v4, v4
	v_cvt_f32_i32_e32 v0, v0
	v_cvt_f16_f32_e32 v46, v4
	v_cvt_f16_f32_e32 v47, v0
	v_sub_nc_u32_sdwa v0, v5, v32 dst_sel:DWORD dst_unused:UNUSED_PAD src0_sel:BYTE_0 src1_sel:DWORD
	v_cvt_f32_i32_e32 v0, v0
	v_cvt_f16_f32_e32 v48, v0
	v_sub_nc_u32_sdwa v0, v5, v32 dst_sel:DWORD dst_unused:UNUSED_PAD src0_sel:BYTE_1 src1_sel:DWORD
	v_cvt_f32_i32_e32 v0, v0
	v_cvt_f16_f32_e32 v49, v0
	v_sub_nc_u32_sdwa v0, v5, v32 dst_sel:DWORD dst_unused:UNUSED_PAD src0_sel:BYTE_2 src1_sel:DWORD
	v_cvt_f32_i32_e32 v0, v0
	v_cvt_f16_f32_e32 v50, v0
	v_sub_nc_u32_sdwa v0, v5, v32 dst_sel:DWORD dst_unused:UNUSED_PAD src0_sel:BYTE_3 src1_sel:DWORD
	v_cvt_f32_i32_e32 v0, v0
	v_cvt_f16_f32_e32 v51, v0
	v_sub_nc_u32_sdwa v0, v1, v32 dst_sel:DWORD dst_unused:UNUSED_PAD src0_sel:BYTE_0 src1_sel:DWORD
	v_cvt_f32_i32_e32 v0, v0
	v_cvt_f16_f32_e32 v52, v0
	v_sub_nc_u32_sdwa v0, v1, v32 dst_sel:DWORD dst_unused:UNUSED_PAD src0_sel:BYTE_1 src1_sel:DWORD
	v_cvt_f32_i32_e32 v0, v0
	v_cvt_f16_f32_e32 v53, v0
	v_sub_nc_u32_sdwa v0, v1, v32 dst_sel:DWORD dst_unused:UNUSED_PAD src0_sel:BYTE_2 src1_sel:DWORD
	v_cvt_f32_i32_e32 v0, v0
	v_cvt_f16_f32_e32 v54, v0
	v_sub_nc_u32_sdwa v0, v1, v32 dst_sel:DWORD dst_unused:UNUSED_PAD src0_sel:BYTE_3 src1_sel:DWORD
	v_cvt_f32_i32_e32 v0, v0
	;; [unrolled: 12-line block ×6, first 2 shown]
	v_cvt_f16_f32_e32 v84, v0
	ds_read_b128 v[70:73], v29
	ds_read_b128 v[8:11], v29 offset:16
	ds_read_b128 v[4:7], v29 offset:32
	;; [unrolled: 1-line block ×5, first 2 shown]
	s_waitcnt lgkmcnt(5)
	v_fma_mix_f32 v74, v39, v70, 0 op_sel_hi:[1,1,0]
	v_fma_mix_f32 v74, v40, v70, v74 op_sel:[0,1,0] op_sel_hi:[1,1,0]
	v_fma_mix_f32 v74, v41, v71, v74 op_sel_hi:[1,1,0]
	v_fma_mix_f32 v74, v42, v71, v74 op_sel:[0,1,0] op_sel_hi:[1,1,0]
	;; [unrolled: 2-line block ×4, first 2 shown]
	v_fma_mixlo_f16 v74, v74, v18, 0 op_sel_hi:[0,1,0]
	v_add_f16_e32 v83, v15, v74
	v_fma_mix_f32 v74, v48, v70, 0 op_sel_hi:[1,1,0]
	v_fma_mix_f32 v74, v49, v70, v74 op_sel:[0,1,0] op_sel_hi:[1,1,0]
	v_fma_mix_f32 v74, v50, v71, v74 op_sel_hi:[1,1,0]
	v_fma_mix_f32 v74, v51, v71, v74 op_sel:[0,1,0] op_sel_hi:[1,1,0]
	;; [unrolled: 2-line block ×4, first 2 shown]
	v_fma_mixlo_f16 v74, v74, v18, 0 op_sel:[0,1,0] op_sel_hi:[0,1,0]
	v_add_f16_sdwa v85, v15, v74 dst_sel:DWORD dst_unused:UNUSED_PAD src0_sel:WORD_1 src1_sel:DWORD
	v_fma_mix_f32 v15, v56, v70, 0 op_sel_hi:[1,1,0]
	v_fma_mix_f32 v15, v57, v70, v15 op_sel:[0,1,0] op_sel_hi:[1,1,0]
	v_fma_mix_f32 v15, v58, v71, v15 op_sel_hi:[1,1,0]
	v_fma_mix_f32 v15, v59, v71, v15 op_sel:[0,1,0] op_sel_hi:[1,1,0]
	;; [unrolled: 2-line block ×4, first 2 shown]
	v_fma_mixlo_f16 v15, v15, v19, 0 op_sel_hi:[0,1,0]
	v_add_f16_e32 v86, v14, v15
	v_fma_mix_f32 v15, v64, v70, 0 op_sel_hi:[1,1,0]
	v_fma_mix_f32 v15, v65, v70, v15 op_sel:[0,1,0] op_sel_hi:[1,1,0]
	v_fma_mix_f32 v15, v66, v71, v15 op_sel_hi:[1,1,0]
	v_fma_mix_f32 v15, v67, v71, v15 op_sel:[0,1,0] op_sel_hi:[1,1,0]
	;; [unrolled: 2-line block ×4, first 2 shown]
	ds_read_b128 v[73:76], v29 offset:256
	v_fma_mixlo_f16 v15, v15, v19, 0 op_sel:[0,1,0] op_sel_hi:[0,1,0]
	v_add_f16_sdwa v87, v14, v15 dst_sel:DWORD dst_unused:UNUSED_PAD src0_sel:WORD_1 src1_sel:DWORD
	s_waitcnt lgkmcnt(0)
	v_fma_mix_f32 v14, v39, v73, 0 op_sel_hi:[1,1,0]
	v_fma_mix_f32 v14, v40, v73, v14 op_sel:[0,1,0] op_sel_hi:[1,1,0]
	v_fma_mix_f32 v14, v41, v74, v14 op_sel_hi:[1,1,0]
	v_fma_mix_f32 v14, v42, v74, v14 op_sel:[0,1,0] op_sel_hi:[1,1,0]
	v_fma_mix_f32 v14, v43, v75, v14 op_sel_hi:[1,1,0]
	v_fma_mix_f32 v14, v45, v75, v14 op_sel:[0,1,0] op_sel_hi:[1,1,0]
	v_fma_mix_f32 v14, v46, v76, v14 op_sel_hi:[1,1,0]
	v_fma_mix_f32 v14, v47, v76, v14 op_sel:[0,1,0] op_sel_hi:[1,1,0]
	v_fma_mixlo_f16 v14, v14, v18, 0 op_sel_hi:[0,1,0]
	v_add_f16_e32 v70, v23, v14
	v_fma_mix_f32 v14, v48, v73, 0 op_sel_hi:[1,1,0]
	v_fma_mix_f32 v14, v49, v73, v14 op_sel:[0,1,0] op_sel_hi:[1,1,0]
	v_fma_mix_f32 v14, v50, v74, v14 op_sel_hi:[1,1,0]
	v_fma_mix_f32 v14, v51, v74, v14 op_sel:[0,1,0] op_sel_hi:[1,1,0]
	v_fma_mix_f32 v14, v52, v75, v14 op_sel_hi:[1,1,0]
	v_fma_mix_f32 v14, v53, v75, v14 op_sel:[0,1,0] op_sel_hi:[1,1,0]
	v_fma_mix_f32 v14, v54, v76, v14 op_sel_hi:[1,1,0]
	v_fma_mix_f32 v14, v55, v76, v14 op_sel:[0,1,0] op_sel_hi:[1,1,0]
	v_fma_mixlo_f16 v14, v14, v18, 0 op_sel:[0,1,0] op_sel_hi:[0,1,0]
	v_add_f16_sdwa v71, v23, v14 dst_sel:DWORD dst_unused:UNUSED_PAD src0_sel:WORD_1 src1_sel:DWORD
	v_fma_mix_f32 v14, v56, v73, 0 op_sel_hi:[1,1,0]
	v_fma_mix_f32 v14, v57, v73, v14 op_sel:[0,1,0] op_sel_hi:[1,1,0]
	v_fma_mix_f32 v14, v58, v74, v14 op_sel_hi:[1,1,0]
	v_fma_mix_f32 v14, v59, v74, v14 op_sel:[0,1,0] op_sel_hi:[1,1,0]
	v_fma_mix_f32 v14, v60, v75, v14 op_sel_hi:[1,1,0]
	v_fma_mix_f32 v14, v61, v75, v14 op_sel:[0,1,0] op_sel_hi:[1,1,0]
	v_fma_mix_f32 v14, v62, v76, v14 op_sel_hi:[1,1,0]
	v_fma_mix_f32 v14, v63, v76, v14 op_sel:[0,1,0] op_sel_hi:[1,1,0]
	v_fma_mixlo_f16 v14, v14, v19, 0 op_sel_hi:[0,1,0]
	v_add_f16_e32 v72, v22, v14
	v_fma_mix_f32 v14, v64, v73, 0 op_sel_hi:[1,1,0]
	v_fma_mix_f32 v14, v65, v73, v14 op_sel:[0,1,0] op_sel_hi:[1,1,0]
	v_fma_mix_f32 v14, v66, v74, v14 op_sel_hi:[1,1,0]
	v_fma_mix_f32 v14, v67, v74, v14 op_sel:[0,1,0] op_sel_hi:[1,1,0]
	v_fma_mix_f32 v14, v68, v75, v14 op_sel_hi:[1,1,0]
	v_fma_mix_f32 v14, v69, v75, v14 op_sel:[0,1,0] op_sel_hi:[1,1,0]
	v_fma_mix_f32 v14, v82, v76, v14 op_sel_hi:[1,1,0]
	v_fma_mix_f32 v14, v84, v76, v14 op_sel:[0,1,0] op_sel_hi:[1,1,0]
	v_fma_mixlo_f16 v14, v14, v19, 0 op_sel:[0,1,0] op_sel_hi:[0,1,0]
	v_add_f16_sdwa v73, v22, v14 dst_sel:DWORD dst_unused:UNUSED_PAD src0_sel:WORD_1 src1_sel:DWORD
	;; [unrolled: 20-line block ×6, first 2 shown]
	ds_read_b128 v[34:37], v29 offset:1024
	s_waitcnt lgkmcnt(0)
	v_fma_mix_f32 v14, v39, v34, 0 op_sel_hi:[1,1,0]
	v_fma_mix_f32 v14, v40, v34, v14 op_sel:[0,1,0] op_sel_hi:[1,1,0]
	v_fma_mix_f32 v14, v41, v35, v14 op_sel_hi:[1,1,0]
	v_fma_mix_f32 v14, v42, v35, v14 op_sel:[0,1,0] op_sel_hi:[1,1,0]
	;; [unrolled: 2-line block ×4, first 2 shown]
	v_fma_mixlo_f16 v14, v14, v18, 0 op_sel_hi:[0,1,0]
	v_add_f16_e32 v41, v44, v14
	v_fma_mix_f32 v14, v48, v34, 0 op_sel_hi:[1,1,0]
	v_fma_mix_f32 v14, v49, v34, v14 op_sel:[0,1,0] op_sel_hi:[1,1,0]
	v_fma_mix_f32 v14, v50, v35, v14 op_sel_hi:[1,1,0]
	v_fma_mix_f32 v14, v51, v35, v14 op_sel:[0,1,0] op_sel_hi:[1,1,0]
	;; [unrolled: 2-line block ×4, first 2 shown]
	v_fma_mixlo_f16 v14, v14, v18, 0 op_sel:[0,1,0] op_sel_hi:[0,1,0]
	v_add_f16_sdwa v22, v44, v14 dst_sel:DWORD dst_unused:UNUSED_PAD src0_sel:WORD_1 src1_sel:DWORD
	v_fma_mix_f32 v14, v56, v34, 0 op_sel_hi:[1,1,0]
	v_fma_mix_f32 v14, v57, v34, v14 op_sel:[0,1,0] op_sel_hi:[1,1,0]
	v_fma_mix_f32 v14, v58, v35, v14 op_sel_hi:[1,1,0]
	v_fma_mix_f32 v14, v59, v35, v14 op_sel:[0,1,0] op_sel_hi:[1,1,0]
	;; [unrolled: 2-line block ×4, first 2 shown]
	v_fma_mixlo_f16 v14, v14, v19, 0 op_sel_hi:[0,1,0]
	v_add_f16_e32 v15, v38, v14
	v_fma_mix_f32 v14, v64, v34, 0 op_sel_hi:[1,1,0]
	v_fma_mix_f32 v14, v65, v34, v14 op_sel:[0,1,0] op_sel_hi:[1,1,0]
	v_fma_mix_f32 v14, v66, v35, v14 op_sel_hi:[1,1,0]
	v_fma_mix_f32 v14, v67, v35, v14 op_sel:[0,1,0] op_sel_hi:[1,1,0]
	;; [unrolled: 2-line block ×4, first 2 shown]
	global_load_dwordx4 v[34:37], v[12:13], off
	v_add_co_u32 v12, vcc_lo, v12, s4
	v_add_co_ci_u32_e64 v13, null, s5, v13, vcc_lo
	v_fma_mixlo_f16 v14, v14, v19, 0 op_sel:[0,1,0] op_sel_hi:[0,1,0]
	global_load_dwordx4 v[88:91], v[12:13], off
	v_add_f16_sdwa v14, v38, v14 dst_sel:DWORD dst_unused:UNUSED_PAD src0_sel:WORD_1 src1_sel:DWORD
	s_waitcnt vmcnt(1)
	v_sub_nc_u32_sdwa v23, v34, v33 dst_sel:DWORD dst_unused:UNUSED_PAD src0_sel:BYTE_0 src1_sel:DWORD
	v_cvt_f32_i32_e32 v23, v23
	v_cvt_f16_f32_e32 v59, v23
	v_sub_nc_u32_sdwa v23, v34, v33 dst_sel:DWORD dst_unused:UNUSED_PAD src0_sel:BYTE_1 src1_sel:DWORD
	v_cvt_f32_i32_e32 v23, v23
	v_cvt_f16_f32_e32 v61, v23
	v_sub_nc_u32_sdwa v23, v34, v33 dst_sel:DWORD dst_unused:UNUSED_PAD src0_sel:BYTE_2 src1_sel:DWORD
	v_cvt_f32_i32_e32 v23, v23
	v_cvt_f16_f32_e32 v63, v23
	v_sub_nc_u32_sdwa v23, v34, v33 dst_sel:DWORD dst_unused:UNUSED_PAD src0_sel:BYTE_3 src1_sel:DWORD
	v_fma_mix_f32 v34, v59, v8, 0 op_sel_hi:[1,1,0]
	v_cvt_f32_i32_e32 v23, v23
	v_fma_mix_f32 v34, v61, v8, v34 op_sel:[0,1,0] op_sel_hi:[1,1,0]
	v_cvt_f16_f32_e32 v65, v23
	s_waitcnt vmcnt(0)
	v_sub_nc_u32_sdwa v23, v88, v33 dst_sel:DWORD dst_unused:UNUSED_PAD src0_sel:BYTE_0 src1_sel:DWORD
	v_fma_mix_f32 v34, v63, v9, v34 op_sel_hi:[1,1,0]
	v_cvt_f32_i32_e32 v23, v23
	v_fma_mix_f32 v34, v65, v9, v34 op_sel:[0,1,0] op_sel_hi:[1,1,0]
	v_cvt_f16_f32_e32 v66, v23
	v_sub_nc_u32_sdwa v23, v88, v33 dst_sel:DWORD dst_unused:UNUSED_PAD src0_sel:BYTE_1 src1_sel:DWORD
	v_fma_mix_f32 v34, v66, v10, v34 op_sel_hi:[1,1,0]
	v_cvt_f32_i32_e32 v23, v23
	v_cvt_f16_f32_e32 v67, v23
	v_sub_nc_u32_sdwa v23, v88, v33 dst_sel:DWORD dst_unused:UNUSED_PAD src0_sel:BYTE_2 src1_sel:DWORD
	v_fma_mix_f32 v34, v67, v10, v34 op_sel:[0,1,0] op_sel_hi:[1,1,0]
	v_cvt_f32_i32_e32 v23, v23
	v_cvt_f16_f32_e32 v68, v23
	v_sub_nc_u32_sdwa v23, v88, v33 dst_sel:DWORD dst_unused:UNUSED_PAD src0_sel:BYTE_3 src1_sel:DWORD
	v_fma_mix_f32 v34, v68, v11, v34 op_sel_hi:[1,1,0]
	v_cvt_f32_i32_e32 v23, v23
	v_cvt_f16_f32_e32 v69, v23
	v_sub_nc_u32_sdwa v23, v35, v32 dst_sel:DWORD dst_unused:UNUSED_PAD src0_sel:BYTE_0 src1_sel:DWORD
	v_fma_mix_f32 v34, v69, v11, v34 op_sel:[0,1,0] op_sel_hi:[1,1,0]
	v_cvt_f32_i32_e32 v23, v23
	v_fma_mixlo_f16 v34, v34, v18, 0 op_sel_hi:[0,1,0]
	v_cvt_f16_f32_e32 v51, v23
	v_sub_nc_u32_sdwa v23, v35, v32 dst_sel:DWORD dst_unused:UNUSED_PAD src0_sel:BYTE_1 src1_sel:DWORD
	v_cvt_f32_i32_e32 v23, v23
	v_cvt_f16_f32_e32 v53, v23
	v_sub_nc_u32_sdwa v23, v35, v32 dst_sel:DWORD dst_unused:UNUSED_PAD src0_sel:BYTE_2 src1_sel:DWORD
	v_cvt_f32_i32_e32 v23, v23
	v_cvt_f16_f32_e32 v55, v23
	v_sub_nc_u32_sdwa v23, v35, v32 dst_sel:DWORD dst_unused:UNUSED_PAD src0_sel:BYTE_3 src1_sel:DWORD
	v_cvt_f32_i32_e32 v23, v23
	v_cvt_f16_f32_e32 v57, v23
	v_sub_nc_u32_sdwa v23, v89, v32 dst_sel:DWORD dst_unused:UNUSED_PAD src0_sel:BYTE_0 src1_sel:DWORD
	v_cvt_f32_i32_e32 v23, v23
	v_cvt_f16_f32_e32 v58, v23
	v_sub_nc_u32_sdwa v23, v89, v32 dst_sel:DWORD dst_unused:UNUSED_PAD src0_sel:BYTE_1 src1_sel:DWORD
	v_cvt_f32_i32_e32 v23, v23
	v_cvt_f16_f32_e32 v60, v23
	v_sub_nc_u32_sdwa v23, v89, v32 dst_sel:DWORD dst_unused:UNUSED_PAD src0_sel:BYTE_2 src1_sel:DWORD
	v_cvt_f32_i32_e32 v23, v23
	v_cvt_f16_f32_e32 v62, v23
	v_sub_nc_u32_sdwa v23, v89, v32 dst_sel:DWORD dst_unused:UNUSED_PAD src0_sel:BYTE_3 src1_sel:DWORD
	v_cvt_f32_i32_e32 v23, v23
	v_cvt_f16_f32_e32 v64, v23
	v_sub_nc_u32_sdwa v23, v36, v31 dst_sel:DWORD dst_unused:UNUSED_PAD src0_sel:BYTE_0 src1_sel:DWORD
	v_cvt_f32_i32_e32 v23, v23
	;; [unrolled: 12-line block ×4, first 2 shown]
	v_cvt_f16_f32_e32 v44, v23
	v_sub_nc_u32_sdwa v23, v37, v30 dst_sel:DWORD dst_unused:UNUSED_PAD src0_sel:BYTE_1 src1_sel:DWORD
	v_cvt_f32_i32_e32 v23, v23
	v_cvt_f16_f32_e32 v45, v23
	v_sub_nc_u32_sdwa v23, v37, v30 dst_sel:DWORD dst_unused:UNUSED_PAD src0_sel:BYTE_2 src1_sel:DWORD
	v_cvt_f32_i32_e32 v23, v23
	v_cvt_f16_f32_e32 v43, v23
	v_sub_nc_u32_sdwa v23, v37, v30 dst_sel:DWORD dst_unused:UNUSED_PAD src0_sel:BYTE_3 src1_sel:DWORD
	v_add_f16_e32 v37, v83, v34
	v_fma_mix_f32 v34, v51, v8, 0 op_sel_hi:[1,1,0]
	v_cvt_f32_i32_e32 v23, v23
	v_fma_mix_f32 v34, v53, v8, v34 op_sel:[0,1,0] op_sel_hi:[1,1,0]
	v_cvt_f16_f32_e32 v42, v23
	v_sub_nc_u32_sdwa v23, v91, v30 dst_sel:DWORD dst_unused:UNUSED_PAD src0_sel:BYTE_0 src1_sel:DWORD
	v_fma_mix_f32 v34, v55, v9, v34 op_sel_hi:[1,1,0]
	v_cvt_f32_i32_e32 v23, v23
	v_fma_mix_f32 v34, v57, v9, v34 op_sel:[0,1,0] op_sel_hi:[1,1,0]
	v_cvt_f16_f32_e32 v40, v23
	v_fma_mix_f32 v34, v58, v10, v34 op_sel_hi:[1,1,0]
	v_sub_nc_u32_sdwa v23, v91, v30 dst_sel:DWORD dst_unused:UNUSED_PAD src0_sel:BYTE_1 src1_sel:DWORD
	v_fma_mix_f32 v34, v60, v10, v34 op_sel:[0,1,0] op_sel_hi:[1,1,0]
	v_cvt_f32_i32_e32 v23, v23
	v_fma_mix_f32 v34, v62, v11, v34 op_sel_hi:[1,1,0]
	v_cvt_f16_f32_e32 v39, v23
	v_sub_nc_u32_sdwa v23, v91, v30 dst_sel:DWORD dst_unused:UNUSED_PAD src0_sel:BYTE_2 src1_sel:DWORD
	v_fma_mix_f32 v34, v64, v11, v34 op_sel:[0,1,0] op_sel_hi:[1,1,0]
	v_cvt_f32_i32_e32 v23, v23
	v_fma_mixlo_f16 v34, v34, v18, 0 op_sel:[0,1,0] op_sel_hi:[0,1,0]
	v_cvt_f16_f32_e32 v38, v23
	v_sub_nc_u32_sdwa v23, v91, v30 dst_sel:DWORD dst_unused:UNUSED_PAD src0_sel:BYTE_3 src1_sel:DWORD
	v_add_f16_e32 v36, v85, v34
	v_fma_mix_f32 v34, v46, v8, 0 op_sel_hi:[1,1,0]
	v_cvt_f32_i32_e32 v23, v23
	v_fma_mix_f32 v34, v47, v8, v34 op_sel:[0,1,0] op_sel_hi:[1,1,0]
	v_cvt_f16_f32_e32 v23, v23
	v_fma_mix_f32 v34, v48, v9, v34 op_sel_hi:[1,1,0]
	v_fma_mix_f32 v34, v49, v9, v34 op_sel:[0,1,0] op_sel_hi:[1,1,0]
	v_fma_mix_f32 v34, v50, v10, v34 op_sel_hi:[1,1,0]
	v_fma_mix_f32 v34, v52, v10, v34 op_sel:[0,1,0] op_sel_hi:[1,1,0]
	v_fma_mix_f32 v34, v54, v11, v34 op_sel_hi:[1,1,0]
	v_fma_mix_f32 v34, v56, v11, v34 op_sel:[0,1,0] op_sel_hi:[1,1,0]
	v_fma_mixlo_f16 v34, v34, v19, 0 op_sel_hi:[0,1,0]
	v_add_f16_e32 v35, v86, v34
	v_fma_mix_f32 v34, v44, v8, 0 op_sel_hi:[1,1,0]
	v_fma_mix_f32 v8, v45, v8, v34 op_sel:[0,1,0] op_sel_hi:[1,1,0]
	v_fma_mix_f32 v8, v43, v9, v8 op_sel_hi:[1,1,0]
	v_fma_mix_f32 v8, v42, v9, v8 op_sel:[0,1,0] op_sel_hi:[1,1,0]
	v_fma_mix_f32 v8, v40, v10, v8 op_sel_hi:[1,1,0]
	v_fma_mix_f32 v8, v39, v10, v8 op_sel:[0,1,0] op_sel_hi:[1,1,0]
	v_fma_mix_f32 v8, v38, v11, v8 op_sel_hi:[1,1,0]
	v_fma_mix_f32 v8, v23, v11, v8 op_sel:[0,1,0] op_sel_hi:[1,1,0]
	v_fma_mixlo_f16 v8, v8, v19, 0 op_sel:[0,1,0] op_sel_hi:[0,1,0]
	v_add_f16_e32 v34, v87, v8
	ds_read_b128 v[8:11], v29 offset:272
	s_waitcnt lgkmcnt(0)
	v_fma_mix_f32 v82, v59, v8, 0 op_sel_hi:[1,1,0]
	v_fma_mix_f32 v82, v61, v8, v82 op_sel:[0,1,0] op_sel_hi:[1,1,0]
	v_fma_mix_f32 v82, v63, v9, v82 op_sel_hi:[1,1,0]
	v_fma_mix_f32 v82, v65, v9, v82 op_sel:[0,1,0] op_sel_hi:[1,1,0]
	v_fma_mix_f32 v82, v66, v10, v82 op_sel_hi:[1,1,0]
	v_fma_mix_f32 v82, v67, v10, v82 op_sel:[0,1,0] op_sel_hi:[1,1,0]
	v_fma_mix_f32 v82, v68, v11, v82 op_sel_hi:[1,1,0]
	v_fma_mix_f32 v82, v69, v11, v82 op_sel:[0,1,0] op_sel_hi:[1,1,0]
	v_fma_mixlo_f16 v82, v82, v18, 0 op_sel_hi:[0,1,0]
	v_add_f16_e32 v70, v70, v82
	v_fma_mix_f32 v82, v51, v8, 0 op_sel_hi:[1,1,0]
	v_fma_mix_f32 v82, v53, v8, v82 op_sel:[0,1,0] op_sel_hi:[1,1,0]
	v_fma_mix_f32 v82, v55, v9, v82 op_sel_hi:[1,1,0]
	v_fma_mix_f32 v82, v57, v9, v82 op_sel:[0,1,0] op_sel_hi:[1,1,0]
	v_fma_mix_f32 v82, v58, v10, v82 op_sel_hi:[1,1,0]
	v_fma_mix_f32 v82, v60, v10, v82 op_sel:[0,1,0] op_sel_hi:[1,1,0]
	v_fma_mix_f32 v82, v62, v11, v82 op_sel_hi:[1,1,0]
	v_fma_mix_f32 v82, v64, v11, v82 op_sel:[0,1,0] op_sel_hi:[1,1,0]
	v_fma_mixlo_f16 v82, v82, v18, 0 op_sel:[0,1,0] op_sel_hi:[0,1,0]
	v_add_f16_e32 v71, v71, v82
	v_fma_mix_f32 v82, v46, v8, 0 op_sel_hi:[1,1,0]
	v_fma_mix_f32 v82, v47, v8, v82 op_sel:[0,1,0] op_sel_hi:[1,1,0]
	v_fma_mix_f32 v82, v48, v9, v82 op_sel_hi:[1,1,0]
	v_fma_mix_f32 v82, v49, v9, v82 op_sel:[0,1,0] op_sel_hi:[1,1,0]
	v_fma_mix_f32 v82, v50, v10, v82 op_sel_hi:[1,1,0]
	v_fma_mix_f32 v82, v52, v10, v82 op_sel:[0,1,0] op_sel_hi:[1,1,0]
	v_fma_mix_f32 v82, v54, v11, v82 op_sel_hi:[1,1,0]
	v_fma_mix_f32 v82, v56, v11, v82 op_sel:[0,1,0] op_sel_hi:[1,1,0]
	v_fma_mixlo_f16 v82, v82, v19, 0 op_sel_hi:[0,1,0]
	v_add_f16_e32 v72, v72, v82
	v_fma_mix_f32 v82, v44, v8, 0 op_sel_hi:[1,1,0]
	v_fma_mix_f32 v8, v45, v8, v82 op_sel:[0,1,0] op_sel_hi:[1,1,0]
	v_fma_mix_f32 v8, v43, v9, v8 op_sel_hi:[1,1,0]
	v_fma_mix_f32 v8, v42, v9, v8 op_sel:[0,1,0] op_sel_hi:[1,1,0]
	v_fma_mix_f32 v8, v40, v10, v8 op_sel_hi:[1,1,0]
	v_fma_mix_f32 v8, v39, v10, v8 op_sel:[0,1,0] op_sel_hi:[1,1,0]
	v_fma_mix_f32 v8, v38, v11, v8 op_sel_hi:[1,1,0]
	v_fma_mix_f32 v8, v23, v11, v8 op_sel:[0,1,0] op_sel_hi:[1,1,0]
	v_fma_mixlo_f16 v8, v8, v19, 0 op_sel:[0,1,0] op_sel_hi:[0,1,0]
	v_add_f16_e32 v73, v73, v8
	ds_read_b128 v[8:11], v29 offset:528
	s_waitcnt lgkmcnt(0)
	v_fma_mix_f32 v82, v59, v8, 0 op_sel_hi:[1,1,0]
	v_fma_mix_f32 v82, v61, v8, v82 op_sel:[0,1,0] op_sel_hi:[1,1,0]
	v_fma_mix_f32 v82, v63, v9, v82 op_sel_hi:[1,1,0]
	v_fma_mix_f32 v82, v65, v9, v82 op_sel:[0,1,0] op_sel_hi:[1,1,0]
	v_fma_mix_f32 v82, v66, v10, v82 op_sel_hi:[1,1,0]
	v_fma_mix_f32 v82, v67, v10, v82 op_sel:[0,1,0] op_sel_hi:[1,1,0]
	v_fma_mix_f32 v82, v68, v11, v82 op_sel_hi:[1,1,0]
	v_fma_mix_f32 v82, v69, v11, v82 op_sel:[0,1,0] op_sel_hi:[1,1,0]
	v_fma_mixlo_f16 v82, v82, v18, 0 op_sel_hi:[0,1,0]
	v_add_f16_e32 v74, v74, v82
	v_fma_mix_f32 v82, v51, v8, 0 op_sel_hi:[1,1,0]
	v_fma_mix_f32 v82, v53, v8, v82 op_sel:[0,1,0] op_sel_hi:[1,1,0]
	v_fma_mix_f32 v82, v55, v9, v82 op_sel_hi:[1,1,0]
	v_fma_mix_f32 v82, v57, v9, v82 op_sel:[0,1,0] op_sel_hi:[1,1,0]
	v_fma_mix_f32 v82, v58, v10, v82 op_sel_hi:[1,1,0]
	v_fma_mix_f32 v82, v60, v10, v82 op_sel:[0,1,0] op_sel_hi:[1,1,0]
	v_fma_mix_f32 v82, v62, v11, v82 op_sel_hi:[1,1,0]
	v_fma_mix_f32 v82, v64, v11, v82 op_sel:[0,1,0] op_sel_hi:[1,1,0]
	v_fma_mixlo_f16 v82, v82, v18, 0 op_sel:[0,1,0] op_sel_hi:[0,1,0]
	v_add_f16_e32 v75, v75, v82
	v_fma_mix_f32 v82, v46, v8, 0 op_sel_hi:[1,1,0]
	v_fma_mix_f32 v82, v47, v8, v82 op_sel:[0,1,0] op_sel_hi:[1,1,0]
	;; [unrolled: 42-line block ×3, first 2 shown]
	v_fma_mix_f32 v82, v48, v9, v82 op_sel_hi:[1,1,0]
	v_fma_mix_f32 v82, v49, v9, v82 op_sel:[0,1,0] op_sel_hi:[1,1,0]
	v_fma_mix_f32 v82, v50, v10, v82 op_sel_hi:[1,1,0]
	v_fma_mix_f32 v82, v52, v10, v82 op_sel:[0,1,0] op_sel_hi:[1,1,0]
	v_fma_mix_f32 v82, v54, v11, v82 op_sel_hi:[1,1,0]
	v_fma_mix_f32 v82, v56, v11, v82 op_sel:[0,1,0] op_sel_hi:[1,1,0]
	v_fma_mixlo_f16 v82, v82, v19, 0 op_sel_hi:[0,1,0]
	v_add_f16_e32 v80, v80, v82
	v_fma_mix_f32 v82, v44, v8, 0 op_sel_hi:[1,1,0]
	v_fma_mix_f32 v8, v45, v8, v82 op_sel:[0,1,0] op_sel_hi:[1,1,0]
	v_fma_mix_f32 v8, v43, v9, v8 op_sel_hi:[1,1,0]
	v_fma_mix_f32 v8, v42, v9, v8 op_sel:[0,1,0] op_sel_hi:[1,1,0]
	;; [unrolled: 2-line block ×4, first 2 shown]
	v_fma_mixlo_f16 v8, v8, v19, 0 op_sel:[0,1,0] op_sel_hi:[0,1,0]
	v_add_f16_e32 v81, v81, v8
	ds_read_b128 v[8:11], v29 offset:1040
	s_waitcnt lgkmcnt(0)
	v_fma_mix_f32 v51, v51, v8, 0 op_sel_hi:[1,1,0]
	v_fma_mix_f32 v59, v59, v8, 0 op_sel_hi:[1,1,0]
	v_fma_mix_f32 v51, v53, v8, v51 op_sel:[0,1,0] op_sel_hi:[1,1,0]
	v_fma_mix_f32 v59, v61, v8, v59 op_sel:[0,1,0] op_sel_hi:[1,1,0]
	v_fma_mix_f32 v51, v55, v9, v51 op_sel_hi:[1,1,0]
	v_fma_mix_f32 v59, v63, v9, v59 op_sel_hi:[1,1,0]
	v_fma_mix_f32 v51, v57, v9, v51 op_sel:[0,1,0] op_sel_hi:[1,1,0]
	v_fma_mix_f32 v59, v65, v9, v59 op_sel:[0,1,0] op_sel_hi:[1,1,0]
	;; [unrolled: 4-line block ×4, first 2 shown]
	v_fma_mixlo_f16 v51, v51, v18, 0 op_sel:[0,1,0] op_sel_hi:[0,1,0]
	v_fma_mixlo_f16 v59, v59, v18, 0 op_sel_hi:[0,1,0]
	v_add_f16_e32 v51, v22, v51
	v_fma_mix_f32 v22, v46, v8, 0 op_sel_hi:[1,1,0]
	v_add_f16_e32 v41, v41, v59
	v_fma_mix_f32 v22, v47, v8, v22 op_sel:[0,1,0] op_sel_hi:[1,1,0]
	v_fma_mix_f32 v22, v48, v9, v22 op_sel_hi:[1,1,0]
	v_fma_mix_f32 v22, v49, v9, v22 op_sel:[0,1,0] op_sel_hi:[1,1,0]
	v_fma_mix_f32 v22, v50, v10, v22 op_sel_hi:[1,1,0]
	;; [unrolled: 2-line block ×3, first 2 shown]
	v_fma_mix_f32 v22, v56, v11, v22 op_sel:[0,1,0] op_sel_hi:[1,1,0]
	v_fma_mixlo_f16 v22, v22, v19, 0 op_sel_hi:[0,1,0]
	v_add_f16_e32 v46, v15, v22
	v_fma_mix_f32 v15, v44, v8, 0 op_sel_hi:[1,1,0]
	v_fma_mix_f32 v8, v45, v8, v15 op_sel:[0,1,0] op_sel_hi:[1,1,0]
	v_fma_mix_f32 v8, v43, v9, v8 op_sel_hi:[1,1,0]
	v_fma_mix_f32 v8, v42, v9, v8 op_sel:[0,1,0] op_sel_hi:[1,1,0]
	;; [unrolled: 2-line block ×4, first 2 shown]
	v_fma_mixlo_f16 v8, v8, v19, 0 op_sel:[0,1,0] op_sel_hi:[0,1,0]
	v_add_f16_e32 v38, v14, v8
	v_add_co_u32 v8, vcc_lo, v12, s4
	v_add_co_ci_u32_e64 v9, null, s5, v13, vcc_lo
	v_add_co_u32 v22, vcc_lo, v8, s4
	global_load_dwordx4 v[12:15], v[8:9], off
	v_add_co_ci_u32_e64 v23, null, s5, v9, vcc_lo
	global_load_dwordx4 v[8:11], v[22:23], off
	s_waitcnt vmcnt(1)
	v_sub_nc_u32_sdwa v47, v13, v32 dst_sel:DWORD dst_unused:UNUSED_PAD src0_sel:BYTE_0 src1_sel:DWORD
	v_sub_nc_u32_sdwa v48, v13, v32 dst_sel:DWORD dst_unused:UNUSED_PAD src0_sel:BYTE_1 src1_sel:DWORD
	v_sub_nc_u32_sdwa v49, v13, v32 dst_sel:DWORD dst_unused:UNUSED_PAD src0_sel:BYTE_2 src1_sel:DWORD
	v_sub_nc_u32_sdwa v13, v13, v32 dst_sel:DWORD dst_unused:UNUSED_PAD src0_sel:BYTE_3 src1_sel:DWORD
	v_sub_nc_u32_sdwa v39, v12, v33 dst_sel:DWORD dst_unused:UNUSED_PAD src0_sel:BYTE_0 src1_sel:DWORD
	v_sub_nc_u32_sdwa v40, v12, v33 dst_sel:DWORD dst_unused:UNUSED_PAD src0_sel:BYTE_1 src1_sel:DWORD
	v_sub_nc_u32_sdwa v42, v12, v33 dst_sel:DWORD dst_unused:UNUSED_PAD src0_sel:BYTE_2 src1_sel:DWORD
	v_sub_nc_u32_sdwa v12, v12, v33 dst_sel:DWORD dst_unused:UNUSED_PAD src0_sel:BYTE_3 src1_sel:DWORD
	v_cvt_f32_i32_e32 v13, v13
	v_cvt_f32_i32_e32 v39, v39
	;; [unrolled: 1-line block ×5, first 2 shown]
	v_cvt_f16_f32_e32 v50, v13
	s_waitcnt vmcnt(0)
	v_sub_nc_u32_sdwa v13, v9, v32 dst_sel:DWORD dst_unused:UNUSED_PAD src0_sel:BYTE_0 src1_sel:DWORD
	v_cvt_f16_f32_e32 v39, v39
	v_cvt_f16_f32_e32 v40, v40
	;; [unrolled: 1-line block ×3, first 2 shown]
	v_sub_nc_u32_sdwa v43, v8, v33 dst_sel:DWORD dst_unused:UNUSED_PAD src0_sel:BYTE_0 src1_sel:DWORD
	v_cvt_f32_i32_e32 v13, v13
	v_cvt_f16_f32_e32 v12, v12
	v_sub_nc_u32_sdwa v44, v8, v33 dst_sel:DWORD dst_unused:UNUSED_PAD src0_sel:BYTE_1 src1_sel:DWORD
	v_sub_nc_u32_sdwa v45, v8, v33 dst_sel:DWORD dst_unused:UNUSED_PAD src0_sel:BYTE_2 src1_sel:DWORD
	v_cvt_f32_i32_e32 v43, v43
	v_cvt_f16_f32_e32 v52, v13
	v_sub_nc_u32_sdwa v13, v9, v32 dst_sel:DWORD dst_unused:UNUSED_PAD src0_sel:BYTE_1 src1_sel:DWORD
	v_cvt_f32_i32_e32 v44, v44
	v_cvt_f32_i32_e32 v45, v45
	v_cvt_f16_f32_e32 v43, v43
	v_sub_nc_u32_sdwa v8, v8, v33 dst_sel:DWORD dst_unused:UNUSED_PAD src0_sel:BYTE_3 src1_sel:DWORD
	v_cvt_f32_i32_e32 v13, v13
	v_cvt_f16_f32_e32 v44, v44
	v_cvt_f16_f32_e32 v45, v45
	v_cvt_f32_i32_e32 v47, v47
	v_cvt_f32_i32_e32 v8, v8
	v_cvt_f16_f32_e32 v53, v13
	v_sub_nc_u32_sdwa v13, v9, v32 dst_sel:DWORD dst_unused:UNUSED_PAD src0_sel:BYTE_2 src1_sel:DWORD
	v_cvt_f32_i32_e32 v48, v48
	v_cvt_f16_f32_e32 v47, v47
	v_cvt_f16_f32_e32 v8, v8
	v_cvt_f32_i32_e32 v49, v49
	v_cvt_f32_i32_e32 v13, v13
	v_cvt_f16_f32_e32 v48, v48
	v_sub_nc_u32_sdwa v9, v9, v32 dst_sel:DWORD dst_unused:UNUSED_PAD src0_sel:BYTE_3 src1_sel:DWORD
	v_cvt_f16_f32_e32 v49, v49
	v_cvt_f16_f32_e32 v54, v13
	v_sub_nc_u32_sdwa v13, v14, v31 dst_sel:DWORD dst_unused:UNUSED_PAD src0_sel:BYTE_0 src1_sel:DWORD
	v_cvt_f32_i32_e32 v9, v9
	v_cvt_f32_i32_e32 v13, v13
	v_cvt_f16_f32_e32 v9, v9
	v_cvt_f16_f32_e32 v55, v13
	v_sub_nc_u32_sdwa v13, v14, v31 dst_sel:DWORD dst_unused:UNUSED_PAD src0_sel:BYTE_1 src1_sel:DWORD
	v_cvt_f32_i32_e32 v13, v13
	v_cvt_f16_f32_e32 v56, v13
	v_sub_nc_u32_sdwa v13, v14, v31 dst_sel:DWORD dst_unused:UNUSED_PAD src0_sel:BYTE_2 src1_sel:DWORD
	v_cvt_f32_i32_e32 v13, v13
	v_cvt_f16_f32_e32 v57, v13
	v_sub_nc_u32_sdwa v13, v14, v31 dst_sel:DWORD dst_unused:UNUSED_PAD src0_sel:BYTE_3 src1_sel:DWORD
	v_cvt_f32_i32_e32 v13, v13
	v_cvt_f16_f32_e32 v14, v13
	v_sub_nc_u32_sdwa v13, v10, v31 dst_sel:DWORD dst_unused:UNUSED_PAD src0_sel:BYTE_0 src1_sel:DWORD
	v_cvt_f32_i32_e32 v13, v13
	v_cvt_f16_f32_e32 v58, v13
	v_sub_nc_u32_sdwa v13, v10, v31 dst_sel:DWORD dst_unused:UNUSED_PAD src0_sel:BYTE_1 src1_sel:DWORD
	v_cvt_f32_i32_e32 v13, v13
	v_cvt_f16_f32_e32 v59, v13
	v_sub_nc_u32_sdwa v13, v10, v31 dst_sel:DWORD dst_unused:UNUSED_PAD src0_sel:BYTE_2 src1_sel:DWORD
	v_sub_nc_u32_sdwa v10, v10, v31 dst_sel:DWORD dst_unused:UNUSED_PAD src0_sel:BYTE_3 src1_sel:DWORD
	v_cvt_f32_i32_e32 v13, v13
	v_cvt_f32_i32_e32 v10, v10
	v_cvt_f16_f32_e32 v60, v13
	v_sub_nc_u32_sdwa v13, v15, v30 dst_sel:DWORD dst_unused:UNUSED_PAD src0_sel:BYTE_0 src1_sel:DWORD
	v_cvt_f16_f32_e32 v10, v10
	v_cvt_f32_i32_e32 v13, v13
	v_cvt_f16_f32_e32 v69, v13
	v_sub_nc_u32_sdwa v13, v15, v30 dst_sel:DWORD dst_unused:UNUSED_PAD src0_sel:BYTE_1 src1_sel:DWORD
	v_cvt_f32_i32_e32 v13, v13
	v_cvt_f16_f32_e32 v82, v13
	v_sub_nc_u32_sdwa v13, v15, v30 dst_sel:DWORD dst_unused:UNUSED_PAD src0_sel:BYTE_2 src1_sel:DWORD
	v_cvt_f32_i32_e32 v13, v13
	v_cvt_f16_f32_e32 v83, v13
	v_sub_nc_u32_sdwa v13, v15, v30 dst_sel:DWORD dst_unused:UNUSED_PAD src0_sel:BYTE_3 src1_sel:DWORD
	v_cvt_f32_i32_e32 v13, v13
	v_cvt_f16_f32_e32 v15, v13
	v_sub_nc_u32_sdwa v13, v11, v30 dst_sel:DWORD dst_unused:UNUSED_PAD src0_sel:BYTE_0 src1_sel:DWORD
	v_cvt_f32_i32_e32 v13, v13
	v_cvt_f16_f32_e32 v84, v13
	v_sub_nc_u32_sdwa v13, v11, v30 dst_sel:DWORD dst_unused:UNUSED_PAD src0_sel:BYTE_1 src1_sel:DWORD
	v_cvt_f32_i32_e32 v13, v13
	v_cvt_f16_f32_e32 v85, v13
	v_sub_nc_u32_sdwa v13, v11, v30 dst_sel:DWORD dst_unused:UNUSED_PAD src0_sel:BYTE_2 src1_sel:DWORD
	v_sub_nc_u32_sdwa v11, v11, v30 dst_sel:DWORD dst_unused:UNUSED_PAD src0_sel:BYTE_3 src1_sel:DWORD
	v_cvt_f32_i32_e32 v13, v13
	v_cvt_f32_i32_e32 v11, v11
	v_cvt_f16_f32_e32 v86, v13
	v_fma_mix_f32 v13, v39, v4, 0 op_sel_hi:[1,1,0]
	v_cvt_f16_f32_e32 v11, v11
	v_fma_mix_f32 v13, v40, v4, v13 op_sel:[0,1,0] op_sel_hi:[1,1,0]
	v_fma_mix_f32 v13, v42, v5, v13 op_sel_hi:[1,1,0]
	v_fma_mix_f32 v13, v12, v5, v13 op_sel:[0,1,0] op_sel_hi:[1,1,0]
	v_fma_mix_f32 v13, v43, v6, v13 op_sel_hi:[1,1,0]
	;; [unrolled: 2-line block ×3, first 2 shown]
	v_fma_mix_f32 v13, v8, v7, v13 op_sel:[0,1,0] op_sel_hi:[1,1,0]
	v_fma_mixlo_f16 v13, v13, v18, 0 op_sel_hi:[0,1,0]
	v_add_f16_e32 v87, v37, v13
	v_fma_mix_f32 v13, v47, v4, 0 op_sel_hi:[1,1,0]
	v_fma_mix_f32 v13, v48, v4, v13 op_sel:[0,1,0] op_sel_hi:[1,1,0]
	v_fma_mix_f32 v13, v49, v5, v13 op_sel_hi:[1,1,0]
	v_fma_mix_f32 v13, v50, v5, v13 op_sel:[0,1,0] op_sel_hi:[1,1,0]
	;; [unrolled: 2-line block ×4, first 2 shown]
	v_fma_mixlo_f16 v13, v13, v18, 0 op_sel:[0,1,0] op_sel_hi:[0,1,0]
	v_add_f16_e32 v88, v36, v13
	v_fma_mix_f32 v13, v55, v4, 0 op_sel_hi:[1,1,0]
	v_fma_mix_f32 v13, v56, v4, v13 op_sel:[0,1,0] op_sel_hi:[1,1,0]
	v_fma_mix_f32 v13, v57, v5, v13 op_sel_hi:[1,1,0]
	v_fma_mix_f32 v13, v14, v5, v13 op_sel:[0,1,0] op_sel_hi:[1,1,0]
	;; [unrolled: 2-line block ×4, first 2 shown]
	v_fma_mixlo_f16 v13, v13, v19, 0 op_sel_hi:[0,1,0]
	v_add_f16_e32 v89, v35, v13
	v_fma_mix_f32 v13, v69, v4, 0 op_sel_hi:[1,1,0]
	v_fma_mix_f32 v4, v82, v4, v13 op_sel:[0,1,0] op_sel_hi:[1,1,0]
	v_fma_mix_f32 v4, v83, v5, v4 op_sel_hi:[1,1,0]
	v_fma_mix_f32 v4, v15, v5, v4 op_sel:[0,1,0] op_sel_hi:[1,1,0]
	;; [unrolled: 2-line block ×4, first 2 shown]
	v_fma_mixlo_f16 v4, v4, v19, 0 op_sel:[0,1,0] op_sel_hi:[0,1,0]
	v_add_f16_e32 v90, v34, v4
	ds_read_b128 v[4:7], v29 offset:288
	s_waitcnt lgkmcnt(0)
	v_fma_mix_f32 v13, v39, v4, 0 op_sel_hi:[1,1,0]
	v_fma_mix_f32 v13, v40, v4, v13 op_sel:[0,1,0] op_sel_hi:[1,1,0]
	v_fma_mix_f32 v13, v42, v5, v13 op_sel_hi:[1,1,0]
	v_fma_mix_f32 v13, v12, v5, v13 op_sel:[0,1,0] op_sel_hi:[1,1,0]
	;; [unrolled: 2-line block ×4, first 2 shown]
	v_fma_mixlo_f16 v13, v13, v18, 0 op_sel_hi:[0,1,0]
	v_add_f16_e32 v67, v70, v13
	v_fma_mix_f32 v13, v47, v4, 0 op_sel_hi:[1,1,0]
	v_fma_mix_f32 v13, v48, v4, v13 op_sel:[0,1,0] op_sel_hi:[1,1,0]
	v_fma_mix_f32 v13, v49, v5, v13 op_sel_hi:[1,1,0]
	v_fma_mix_f32 v13, v50, v5, v13 op_sel:[0,1,0] op_sel_hi:[1,1,0]
	;; [unrolled: 2-line block ×4, first 2 shown]
	v_fma_mixlo_f16 v13, v13, v18, 0 op_sel:[0,1,0] op_sel_hi:[0,1,0]
	v_add_f16_e32 v68, v71, v13
	v_fma_mix_f32 v13, v55, v4, 0 op_sel_hi:[1,1,0]
	v_fma_mix_f32 v13, v56, v4, v13 op_sel:[0,1,0] op_sel_hi:[1,1,0]
	v_fma_mix_f32 v13, v57, v5, v13 op_sel_hi:[1,1,0]
	v_fma_mix_f32 v13, v14, v5, v13 op_sel:[0,1,0] op_sel_hi:[1,1,0]
	;; [unrolled: 2-line block ×4, first 2 shown]
	v_fma_mixlo_f16 v13, v13, v19, 0 op_sel_hi:[0,1,0]
	v_add_f16_e32 v65, v72, v13
	v_fma_mix_f32 v13, v69, v4, 0 op_sel_hi:[1,1,0]
	v_fma_mix_f32 v4, v82, v4, v13 op_sel:[0,1,0] op_sel_hi:[1,1,0]
	v_fma_mix_f32 v4, v83, v5, v4 op_sel_hi:[1,1,0]
	v_fma_mix_f32 v4, v15, v5, v4 op_sel:[0,1,0] op_sel_hi:[1,1,0]
	;; [unrolled: 2-line block ×4, first 2 shown]
	v_fma_mixlo_f16 v4, v4, v19, 0 op_sel:[0,1,0] op_sel_hi:[0,1,0]
	v_add_f16_e32 v66, v73, v4
	ds_read_b128 v[4:7], v29 offset:544
	ds_read_b128 v[70:73], v29 offset:1056
	s_waitcnt lgkmcnt(1)
	v_fma_mix_f32 v13, v39, v4, 0 op_sel_hi:[1,1,0]
	v_fma_mix_f32 v13, v40, v4, v13 op_sel:[0,1,0] op_sel_hi:[1,1,0]
	v_fma_mix_f32 v13, v42, v5, v13 op_sel_hi:[1,1,0]
	v_fma_mix_f32 v13, v12, v5, v13 op_sel:[0,1,0] op_sel_hi:[1,1,0]
	;; [unrolled: 2-line block ×4, first 2 shown]
	v_fma_mixlo_f16 v13, v13, v18, 0 op_sel_hi:[0,1,0]
	v_add_f16_e32 v35, v74, v13
	v_fma_mix_f32 v13, v47, v4, 0 op_sel_hi:[1,1,0]
	v_fma_mix_f32 v13, v48, v4, v13 op_sel:[0,1,0] op_sel_hi:[1,1,0]
	v_fma_mix_f32 v13, v49, v5, v13 op_sel_hi:[1,1,0]
	v_fma_mix_f32 v13, v50, v5, v13 op_sel:[0,1,0] op_sel_hi:[1,1,0]
	;; [unrolled: 2-line block ×4, first 2 shown]
	v_fma_mixlo_f16 v13, v13, v18, 0 op_sel:[0,1,0] op_sel_hi:[0,1,0]
	v_add_f16_e32 v64, v75, v13
	v_fma_mix_f32 v13, v55, v4, 0 op_sel_hi:[1,1,0]
	v_fma_mix_f32 v13, v56, v4, v13 op_sel:[0,1,0] op_sel_hi:[1,1,0]
	v_fma_mix_f32 v13, v57, v5, v13 op_sel_hi:[1,1,0]
	v_fma_mix_f32 v13, v14, v5, v13 op_sel:[0,1,0] op_sel_hi:[1,1,0]
	;; [unrolled: 2-line block ×4, first 2 shown]
	v_fma_mixlo_f16 v13, v13, v19, 0 op_sel_hi:[0,1,0]
	v_add_f16_e32 v34, v76, v13
	v_fma_mix_f32 v13, v69, v4, 0 op_sel_hi:[1,1,0]
	v_fma_mix_f32 v4, v82, v4, v13 op_sel:[0,1,0] op_sel_hi:[1,1,0]
	v_fma_mix_f32 v4, v83, v5, v4 op_sel_hi:[1,1,0]
	v_fma_mix_f32 v4, v15, v5, v4 op_sel:[0,1,0] op_sel_hi:[1,1,0]
	;; [unrolled: 2-line block ×4, first 2 shown]
	v_fma_mixlo_f16 v4, v4, v19, 0 op_sel:[0,1,0] op_sel_hi:[0,1,0]
	v_add_f16_e32 v63, v77, v4
	ds_read_b128 v[4:7], v29 offset:800
	s_waitcnt lgkmcnt(0)
	v_fma_mix_f32 v13, v39, v4, 0 op_sel_hi:[1,1,0]
	v_fma_mix_f32 v13, v40, v4, v13 op_sel:[0,1,0] op_sel_hi:[1,1,0]
	v_fma_mix_f32 v13, v42, v5, v13 op_sel_hi:[1,1,0]
	v_fma_mix_f32 v13, v12, v5, v13 op_sel:[0,1,0] op_sel_hi:[1,1,0]
	;; [unrolled: 2-line block ×4, first 2 shown]
	v_fma_mixlo_f16 v13, v13, v18, 0 op_sel_hi:[0,1,0]
	v_add_f16_e32 v37, v78, v13
	v_fma_mix_f32 v13, v47, v4, 0 op_sel_hi:[1,1,0]
	v_fma_mix_f32 v13, v48, v4, v13 op_sel:[0,1,0] op_sel_hi:[1,1,0]
	v_fma_mix_f32 v13, v49, v5, v13 op_sel_hi:[1,1,0]
	v_fma_mix_f32 v13, v50, v5, v13 op_sel:[0,1,0] op_sel_hi:[1,1,0]
	;; [unrolled: 2-line block ×4, first 2 shown]
	v_fma_mixlo_f16 v13, v13, v18, 0 op_sel:[0,1,0] op_sel_hi:[0,1,0]
	v_add_f16_e32 v62, v79, v13
	v_fma_mix_f32 v13, v55, v4, 0 op_sel_hi:[1,1,0]
	v_fma_mix_f32 v13, v56, v4, v13 op_sel:[0,1,0] op_sel_hi:[1,1,0]
	v_fma_mix_f32 v13, v57, v5, v13 op_sel_hi:[1,1,0]
	v_fma_mix_f32 v13, v14, v5, v13 op_sel:[0,1,0] op_sel_hi:[1,1,0]
	;; [unrolled: 2-line block ×4, first 2 shown]
	v_fma_mixlo_f16 v13, v13, v19, 0 op_sel_hi:[0,1,0]
	v_add_f16_e32 v36, v80, v13
	v_fma_mix_f32 v13, v69, v4, 0 op_sel_hi:[1,1,0]
	v_fma_mix_f32 v4, v82, v4, v13 op_sel:[0,1,0] op_sel_hi:[1,1,0]
	v_fma_mix_f32 v4, v83, v5, v4 op_sel_hi:[1,1,0]
	v_fma_mix_f32 v4, v15, v5, v4 op_sel:[0,1,0] op_sel_hi:[1,1,0]
	;; [unrolled: 2-line block ×3, first 2 shown]
	v_add_co_u32 v6, vcc_lo, v22, s4
	v_fma_mix_f32 v4, v86, v7, v4 op_sel_hi:[1,1,0]
	v_fma_mix_f32 v4, v11, v7, v4 op_sel:[0,1,0] op_sel_hi:[1,1,0]
	v_add_co_ci_u32_e64 v7, null, s5, v23, vcc_lo
	v_fma_mixlo_f16 v4, v4, v19, 0 op_sel:[0,1,0] op_sel_hi:[0,1,0]
	v_add_f16_e32 v61, v81, v4
	v_fma_mix_f32 v4, v39, v70, 0 op_sel_hi:[1,1,0]
	v_fma_mix_f32 v4, v40, v70, v4 op_sel:[0,1,0] op_sel_hi:[1,1,0]
	v_fma_mix_f32 v4, v42, v71, v4 op_sel_hi:[1,1,0]
	v_fma_mix_f32 v4, v12, v71, v4 op_sel:[0,1,0] op_sel_hi:[1,1,0]
	;; [unrolled: 2-line block ×4, first 2 shown]
	v_fma_mixlo_f16 v4, v4, v18, 0 op_sel_hi:[0,1,0]
	v_add_f16_e32 v13, v41, v4
	v_fma_mix_f32 v4, v47, v70, 0 op_sel_hi:[1,1,0]
	v_fma_mix_f32 v4, v48, v70, v4 op_sel:[0,1,0] op_sel_hi:[1,1,0]
	v_fma_mix_f32 v4, v49, v71, v4 op_sel_hi:[1,1,0]
	v_fma_mix_f32 v4, v50, v71, v4 op_sel:[0,1,0] op_sel_hi:[1,1,0]
	;; [unrolled: 2-line block ×4, first 2 shown]
	v_fma_mixlo_f16 v4, v4, v18, 0 op_sel:[0,1,0] op_sel_hi:[0,1,0]
	v_add_f16_e32 v8, v51, v4
	v_fma_mix_f32 v4, v55, v70, 0 op_sel_hi:[1,1,0]
	v_fma_mix_f32 v4, v56, v70, v4 op_sel:[0,1,0] op_sel_hi:[1,1,0]
	v_fma_mix_f32 v4, v57, v71, v4 op_sel_hi:[1,1,0]
	v_fma_mix_f32 v4, v14, v71, v4 op_sel:[0,1,0] op_sel_hi:[1,1,0]
	;; [unrolled: 2-line block ×4, first 2 shown]
	v_fma_mixlo_f16 v4, v4, v19, 0 op_sel_hi:[0,1,0]
	v_add_f16_e32 v5, v46, v4
	v_fma_mix_f32 v4, v69, v70, 0 op_sel_hi:[1,1,0]
	v_fma_mix_f32 v4, v82, v70, v4 op_sel:[0,1,0] op_sel_hi:[1,1,0]
	v_fma_mix_f32 v4, v83, v71, v4 op_sel_hi:[1,1,0]
	v_fma_mix_f32 v4, v15, v71, v4 op_sel:[0,1,0] op_sel_hi:[1,1,0]
	;; [unrolled: 2-line block ×3, first 2 shown]
	global_load_dwordx4 v[69:72], v[6:7], off
	v_add_co_u32 v6, vcc_lo, v6, s4
	v_add_co_ci_u32_e64 v7, null, s5, v7, vcc_lo
	v_fma_mix_f32 v4, v86, v73, v4 op_sel_hi:[1,1,0]
	v_add_co_u32 v20, vcc_lo, v20, s2
	v_add_co_ci_u32_e64 v21, null, s3, v21, vcc_lo
	v_fma_mix_f32 v4, v11, v73, v4 op_sel:[0,1,0] op_sel_hi:[1,1,0]
	global_load_dwordx4 v[73:76], v[6:7], off
	v_fma_mixlo_f16 v4, v4, v19, 0 op_sel:[0,1,0] op_sel_hi:[0,1,0]
	v_add_f16_e32 v4, v38, v4
	s_waitcnt vmcnt(1)
	v_sub_nc_u32_sdwa v6, v69, v33 dst_sel:DWORD dst_unused:UNUSED_PAD src0_sel:BYTE_0 src1_sel:DWORD
	v_cvt_f32_i32_e32 v6, v6
	v_cvt_f16_f32_e32 v53, v6
	v_sub_nc_u32_sdwa v6, v69, v33 dst_sel:DWORD dst_unused:UNUSED_PAD src0_sel:BYTE_1 src1_sel:DWORD
	v_fma_mix_f32 v14, v53, v0, 0 op_sel_hi:[1,1,0]
	v_cvt_f32_i32_e32 v6, v6
	v_cvt_f16_f32_e32 v54, v6
	v_sub_nc_u32_sdwa v6, v69, v33 dst_sel:DWORD dst_unused:UNUSED_PAD src0_sel:BYTE_2 src1_sel:DWORD
	v_fma_mix_f32 v14, v54, v0, v14 op_sel:[0,1,0] op_sel_hi:[1,1,0]
	v_cvt_f32_i32_e32 v6, v6
	v_cvt_f16_f32_e32 v55, v6
	v_sub_nc_u32_sdwa v6, v69, v33 dst_sel:DWORD dst_unused:UNUSED_PAD src0_sel:BYTE_3 src1_sel:DWORD
	v_fma_mix_f32 v14, v55, v1, v14 op_sel_hi:[1,1,0]
	v_cvt_f32_i32_e32 v6, v6
	v_cvt_f16_f32_e32 v56, v6
	s_waitcnt vmcnt(0)
	v_sub_nc_u32_sdwa v6, v73, v33 dst_sel:DWORD dst_unused:UNUSED_PAD src0_sel:BYTE_0 src1_sel:DWORD
	v_fma_mix_f32 v14, v56, v1, v14 op_sel:[0,1,0] op_sel_hi:[1,1,0]
	v_cvt_f32_i32_e32 v6, v6
	v_cvt_f16_f32_e32 v57, v6
	v_sub_nc_u32_sdwa v6, v73, v33 dst_sel:DWORD dst_unused:UNUSED_PAD src0_sel:BYTE_1 src1_sel:DWORD
	v_fma_mix_f32 v14, v57, v2, v14 op_sel_hi:[1,1,0]
	v_cvt_f32_i32_e32 v6, v6
	v_cvt_f16_f32_e32 v58, v6
	v_sub_nc_u32_sdwa v6, v73, v33 dst_sel:DWORD dst_unused:UNUSED_PAD src0_sel:BYTE_2 src1_sel:DWORD
	v_fma_mix_f32 v14, v58, v2, v14 op_sel:[0,1,0] op_sel_hi:[1,1,0]
	v_cvt_f32_i32_e32 v6, v6
	v_cvt_f16_f32_e32 v59, v6
	v_sub_nc_u32_sdwa v6, v73, v33 dst_sel:DWORD dst_unused:UNUSED_PAD src0_sel:BYTE_3 src1_sel:DWORD
	v_fma_mix_f32 v14, v59, v3, v14 op_sel_hi:[1,1,0]
	v_cvt_f32_i32_e32 v6, v6
	v_cvt_f16_f32_e32 v60, v6
	v_sub_nc_u32_sdwa v6, v70, v32 dst_sel:DWORD dst_unused:UNUSED_PAD src0_sel:BYTE_0 src1_sel:DWORD
	v_fma_mix_f32 v14, v60, v3, v14 op_sel:[0,1,0] op_sel_hi:[1,1,0]
	v_cvt_f32_i32_e32 v6, v6
	v_fma_mixlo_f16 v14, v14, v18, 0 op_sel_hi:[0,1,0]
	v_cvt_f16_f32_e32 v44, v6
	v_sub_nc_u32_sdwa v6, v70, v32 dst_sel:DWORD dst_unused:UNUSED_PAD src0_sel:BYTE_1 src1_sel:DWORD
	v_add_f16_e32 v14, v87, v14
	v_fma_mix_f32 v15, v44, v0, 0 op_sel_hi:[1,1,0]
	v_cvt_f32_i32_e32 v6, v6
	v_cvt_f16_f32_e32 v46, v6
	v_sub_nc_u32_sdwa v6, v70, v32 dst_sel:DWORD dst_unused:UNUSED_PAD src0_sel:BYTE_2 src1_sel:DWORD
	v_fma_mix_f32 v15, v46, v0, v15 op_sel:[0,1,0] op_sel_hi:[1,1,0]
	v_cvt_f32_i32_e32 v6, v6
	v_cvt_f16_f32_e32 v47, v6
	v_sub_nc_u32_sdwa v6, v70, v32 dst_sel:DWORD dst_unused:UNUSED_PAD src0_sel:BYTE_3 src1_sel:DWORD
	v_fma_mix_f32 v15, v47, v1, v15 op_sel_hi:[1,1,0]
	v_cvt_f32_i32_e32 v6, v6
	v_cvt_f16_f32_e32 v48, v6
	v_sub_nc_u32_sdwa v6, v74, v32 dst_sel:DWORD dst_unused:UNUSED_PAD src0_sel:BYTE_0 src1_sel:DWORD
	v_fma_mix_f32 v15, v48, v1, v15 op_sel:[0,1,0] op_sel_hi:[1,1,0]
	v_cvt_f32_i32_e32 v6, v6
	v_cvt_f16_f32_e32 v49, v6
	v_sub_nc_u32_sdwa v6, v74, v32 dst_sel:DWORD dst_unused:UNUSED_PAD src0_sel:BYTE_1 src1_sel:DWORD
	v_fma_mix_f32 v15, v49, v2, v15 op_sel_hi:[1,1,0]
	v_cvt_f32_i32_e32 v6, v6
	v_cvt_f16_f32_e32 v50, v6
	v_sub_nc_u32_sdwa v6, v74, v32 dst_sel:DWORD dst_unused:UNUSED_PAD src0_sel:BYTE_2 src1_sel:DWORD
	v_fma_mix_f32 v15, v50, v2, v15 op_sel:[0,1,0] op_sel_hi:[1,1,0]
	v_cvt_f32_i32_e32 v6, v6
	v_cvt_f16_f32_e32 v51, v6
	v_sub_nc_u32_sdwa v6, v74, v32 dst_sel:DWORD dst_unused:UNUSED_PAD src0_sel:BYTE_3 src1_sel:DWORD
	v_fma_mix_f32 v15, v51, v3, v15 op_sel_hi:[1,1,0]
	v_cvt_f32_i32_e32 v6, v6
	v_cvt_f16_f32_e32 v52, v6
	v_sub_nc_u32_sdwa v6, v71, v31 dst_sel:DWORD dst_unused:UNUSED_PAD src0_sel:BYTE_0 src1_sel:DWORD
	v_fma_mix_f32 v15, v52, v3, v15 op_sel:[0,1,0] op_sel_hi:[1,1,0]
	v_cvt_f32_i32_e32 v6, v6
	v_fma_mixlo_f16 v15, v15, v18, 0 op_sel:[0,1,0] op_sel_hi:[0,1,0]
	v_cvt_f16_f32_e32 v33, v6
	v_sub_nc_u32_sdwa v6, v71, v31 dst_sel:DWORD dst_unused:UNUSED_PAD src0_sel:BYTE_1 src1_sel:DWORD
	v_add_f16_e32 v15, v88, v15
	v_cvt_f32_i32_e32 v6, v6
	v_pack_b32_f16 v15, v14, v15
	v_fma_mix_f32 v14, v33, v0, 0 op_sel_hi:[1,1,0]
	v_cvt_f16_f32_e32 v38, v6
	v_sub_nc_u32_sdwa v6, v71, v31 dst_sel:DWORD dst_unused:UNUSED_PAD src0_sel:BYTE_2 src1_sel:DWORD
	v_fma_mix_f32 v14, v38, v0, v14 op_sel:[0,1,0] op_sel_hi:[1,1,0]
	v_cvt_f32_i32_e32 v6, v6
	v_cvt_f16_f32_e32 v39, v6
	v_sub_nc_u32_sdwa v6, v71, v31 dst_sel:DWORD dst_unused:UNUSED_PAD src0_sel:BYTE_3 src1_sel:DWORD
	v_fma_mix_f32 v14, v39, v1, v14 op_sel_hi:[1,1,0]
	v_cvt_f32_i32_e32 v6, v6
	v_cvt_f16_f32_e32 v40, v6
	v_sub_nc_u32_sdwa v6, v75, v31 dst_sel:DWORD dst_unused:UNUSED_PAD src0_sel:BYTE_0 src1_sel:DWORD
	v_fma_mix_f32 v14, v40, v1, v14 op_sel:[0,1,0] op_sel_hi:[1,1,0]
	v_cvt_f32_i32_e32 v6, v6
	v_cvt_f16_f32_e32 v41, v6
	v_sub_nc_u32_sdwa v6, v75, v31 dst_sel:DWORD dst_unused:UNUSED_PAD src0_sel:BYTE_1 src1_sel:DWORD
	v_fma_mix_f32 v14, v41, v2, v14 op_sel_hi:[1,1,0]
	v_cvt_f32_i32_e32 v6, v6
	v_cvt_f16_f32_e32 v42, v6
	v_sub_nc_u32_sdwa v6, v75, v31 dst_sel:DWORD dst_unused:UNUSED_PAD src0_sel:BYTE_2 src1_sel:DWORD
	v_fma_mix_f32 v14, v42, v2, v14 op_sel:[0,1,0] op_sel_hi:[1,1,0]
	v_cvt_f32_i32_e32 v6, v6
	v_cvt_f16_f32_e32 v43, v6
	v_sub_nc_u32_sdwa v6, v75, v31 dst_sel:DWORD dst_unused:UNUSED_PAD src0_sel:BYTE_3 src1_sel:DWORD
	v_fma_mix_f32 v14, v43, v3, v14 op_sel_hi:[1,1,0]
	v_cvt_f32_i32_e32 v6, v6
	v_cvt_f16_f32_e32 v45, v6
	v_sub_nc_u32_sdwa v6, v72, v30 dst_sel:DWORD dst_unused:UNUSED_PAD src0_sel:BYTE_0 src1_sel:DWORD
	v_fma_mix_f32 v14, v45, v3, v14 op_sel:[0,1,0] op_sel_hi:[1,1,0]
	v_cvt_f32_i32_e32 v6, v6
	v_fma_mixlo_f16 v14, v14, v19, 0 op_sel_hi:[0,1,0]
	v_cvt_f16_f32_e32 v31, v6
	v_sub_nc_u32_sdwa v6, v72, v30 dst_sel:DWORD dst_unused:UNUSED_PAD src0_sel:BYTE_1 src1_sel:DWORD
	v_add_f16_e32 v14, v89, v14
	v_fma_mix_f32 v22, v31, v0, 0 op_sel_hi:[1,1,0]
	v_cvt_f32_i32_e32 v6, v6
	v_cvt_f16_f32_e32 v32, v6
	v_sub_nc_u32_sdwa v6, v72, v30 dst_sel:DWORD dst_unused:UNUSED_PAD src0_sel:BYTE_2 src1_sel:DWORD
	v_fma_mix_f32 v0, v32, v0, v22 op_sel:[0,1,0] op_sel_hi:[1,1,0]
	v_cvt_f32_i32_e32 v6, v6
	v_cvt_f16_f32_e32 v12, v6
	v_sub_nc_u32_sdwa v6, v72, v30 dst_sel:DWORD dst_unused:UNUSED_PAD src0_sel:BYTE_3 src1_sel:DWORD
	v_fma_mix_f32 v0, v12, v1, v0 op_sel_hi:[1,1,0]
	v_cvt_f32_i32_e32 v6, v6
	v_cvt_f16_f32_e32 v11, v6
	v_sub_nc_u32_sdwa v6, v76, v30 dst_sel:DWORD dst_unused:UNUSED_PAD src0_sel:BYTE_0 src1_sel:DWORD
	v_fma_mix_f32 v0, v11, v1, v0 op_sel:[0,1,0] op_sel_hi:[1,1,0]
	v_cvt_f32_i32_e32 v6, v6
	v_cvt_f16_f32_e32 v10, v6
	v_sub_nc_u32_sdwa v6, v76, v30 dst_sel:DWORD dst_unused:UNUSED_PAD src0_sel:BYTE_1 src1_sel:DWORD
	v_fma_mix_f32 v0, v10, v2, v0 op_sel_hi:[1,1,0]
	v_cvt_f32_i32_e32 v6, v6
	v_cvt_f16_f32_e32 v9, v6
	v_sub_nc_u32_sdwa v6, v76, v30 dst_sel:DWORD dst_unused:UNUSED_PAD src0_sel:BYTE_2 src1_sel:DWORD
	v_fma_mix_f32 v0, v9, v2, v0 op_sel:[0,1,0] op_sel_hi:[1,1,0]
	v_cvt_f32_i32_e32 v6, v6
	v_cvt_f16_f32_e32 v7, v6
	v_sub_nc_u32_sdwa v6, v76, v30 dst_sel:DWORD dst_unused:UNUSED_PAD src0_sel:BYTE_3 src1_sel:DWORD
	v_fma_mix_f32 v0, v7, v3, v0 op_sel_hi:[1,1,0]
	v_cvt_f32_i32_e32 v6, v6
	v_cvt_f16_f32_e32 v6, v6
	v_fma_mix_f32 v0, v6, v3, v0 op_sel:[0,1,0] op_sel_hi:[1,1,0]
	v_fma_mixlo_f16 v0, v0, v19, 0 op_sel:[0,1,0] op_sel_hi:[0,1,0]
	v_add_f16_e32 v0, v90, v0
	v_pack_b32_f16 v14, v14, v0
	ds_read_b128 v[0:3], v29 offset:304
	s_waitcnt lgkmcnt(0)
	v_fma_mix_f32 v22, v53, v0, 0 op_sel_hi:[1,1,0]
	v_fma_mix_f32 v23, v44, v0, 0 op_sel_hi:[1,1,0]
	;; [unrolled: 1-line block ×3, first 2 shown]
	v_fma_mix_f32 v22, v54, v0, v22 op_sel:[0,1,0] op_sel_hi:[1,1,0]
	v_fma_mix_f32 v23, v46, v0, v23 op_sel:[0,1,0] op_sel_hi:[1,1,0]
	v_fma_mix_f32 v22, v55, v1, v22 op_sel_hi:[1,1,0]
	v_fma_mix_f32 v23, v47, v1, v23 op_sel_hi:[1,1,0]
	v_fma_mix_f32 v22, v56, v1, v22 op_sel:[0,1,0] op_sel_hi:[1,1,0]
	v_fma_mix_f32 v23, v48, v1, v23 op_sel:[0,1,0] op_sel_hi:[1,1,0]
	v_fma_mix_f32 v22, v57, v2, v22 op_sel_hi:[1,1,0]
	v_fma_mix_f32 v23, v49, v2, v23 op_sel_hi:[1,1,0]
	;; [unrolled: 4-line block ×3, first 2 shown]
	v_fma_mix_f32 v22, v60, v3, v22 op_sel:[0,1,0] op_sel_hi:[1,1,0]
	v_fma_mix_f32 v23, v52, v3, v23 op_sel:[0,1,0] op_sel_hi:[1,1,0]
	v_fma_mixlo_f16 v22, v22, v18, 0 op_sel_hi:[0,1,0]
	v_fma_mixlo_f16 v23, v23, v18, 0 op_sel:[0,1,0] op_sel_hi:[0,1,0]
	v_add_f16_e32 v22, v67, v22
	v_add_f16_e32 v23, v68, v23
	v_pack_b32_f16 v23, v22, v23
	v_fma_mix_f32 v22, v33, v0, 0 op_sel_hi:[1,1,0]
	v_fma_mix_f32 v22, v38, v0, v22 op_sel:[0,1,0] op_sel_hi:[1,1,0]
	v_fma_mix_f32 v0, v32, v0, v30 op_sel:[0,1,0] op_sel_hi:[1,1,0]
	v_fma_mix_f32 v22, v39, v1, v22 op_sel_hi:[1,1,0]
	v_fma_mix_f32 v0, v12, v1, v0 op_sel_hi:[1,1,0]
	v_fma_mix_f32 v22, v40, v1, v22 op_sel:[0,1,0] op_sel_hi:[1,1,0]
	v_fma_mix_f32 v0, v11, v1, v0 op_sel:[0,1,0] op_sel_hi:[1,1,0]
	v_fma_mix_f32 v22, v41, v2, v22 op_sel_hi:[1,1,0]
	;; [unrolled: 4-line block ×3, first 2 shown]
	v_fma_mix_f32 v0, v7, v3, v0 op_sel_hi:[1,1,0]
	v_fma_mix_f32 v22, v45, v3, v22 op_sel:[0,1,0] op_sel_hi:[1,1,0]
	v_fma_mix_f32 v0, v6, v3, v0 op_sel:[0,1,0] op_sel_hi:[1,1,0]
	v_fma_mixlo_f16 v22, v22, v19, 0 op_sel_hi:[0,1,0]
	v_fma_mixlo_f16 v0, v0, v19, 0 op_sel:[0,1,0] op_sel_hi:[0,1,0]
	v_add_f16_e32 v22, v65, v22
	v_add_f16_e32 v0, v66, v0
	v_pack_b32_f16 v22, v22, v0
	ds_read_b128 v[0:3], v29 offset:560
	s_waitcnt lgkmcnt(0)
	v_fma_mix_f32 v30, v53, v0, 0 op_sel_hi:[1,1,0]
	v_fma_mix_f32 v30, v54, v0, v30 op_sel:[0,1,0] op_sel_hi:[1,1,0]
	v_fma_mix_f32 v30, v55, v1, v30 op_sel_hi:[1,1,0]
	v_fma_mix_f32 v30, v56, v1, v30 op_sel:[0,1,0] op_sel_hi:[1,1,0]
	v_fma_mix_f32 v30, v57, v2, v30 op_sel_hi:[1,1,0]
	v_fma_mix_f32 v30, v58, v2, v30 op_sel:[0,1,0] op_sel_hi:[1,1,0]
	v_fma_mix_f32 v30, v59, v3, v30 op_sel_hi:[1,1,0]
	v_fma_mix_f32 v30, v60, v3, v30 op_sel:[0,1,0] op_sel_hi:[1,1,0]
	v_fma_mixlo_f16 v30, v30, v18, 0 op_sel_hi:[0,1,0]
	v_add_f16_e32 v30, v35, v30
	v_fma_mix_f32 v35, v44, v0, 0 op_sel_hi:[1,1,0]
	v_fma_mix_f32 v35, v46, v0, v35 op_sel:[0,1,0] op_sel_hi:[1,1,0]
	v_fma_mix_f32 v35, v47, v1, v35 op_sel_hi:[1,1,0]
	v_fma_mix_f32 v35, v48, v1, v35 op_sel:[0,1,0] op_sel_hi:[1,1,0]
	v_fma_mix_f32 v35, v49, v2, v35 op_sel_hi:[1,1,0]
	v_fma_mix_f32 v35, v50, v2, v35 op_sel:[0,1,0] op_sel_hi:[1,1,0]
	v_fma_mix_f32 v35, v51, v3, v35 op_sel_hi:[1,1,0]
	v_fma_mix_f32 v35, v52, v3, v35 op_sel:[0,1,0] op_sel_hi:[1,1,0]
	v_fma_mixlo_f16 v35, v35, v18, 0 op_sel:[0,1,0] op_sel_hi:[0,1,0]
	v_add_f16_e32 v35, v64, v35
	v_pack_b32_f16 v35, v30, v35
	v_fma_mix_f32 v30, v33, v0, 0 op_sel_hi:[1,1,0]
	v_fma_mix_f32 v30, v38, v0, v30 op_sel:[0,1,0] op_sel_hi:[1,1,0]
	v_fma_mix_f32 v30, v39, v1, v30 op_sel_hi:[1,1,0]
	v_fma_mix_f32 v30, v40, v1, v30 op_sel:[0,1,0] op_sel_hi:[1,1,0]
	v_fma_mix_f32 v30, v41, v2, v30 op_sel_hi:[1,1,0]
	v_fma_mix_f32 v30, v42, v2, v30 op_sel:[0,1,0] op_sel_hi:[1,1,0]
	v_fma_mix_f32 v30, v43, v3, v30 op_sel_hi:[1,1,0]
	v_fma_mix_f32 v30, v45, v3, v30 op_sel:[0,1,0] op_sel_hi:[1,1,0]
	v_fma_mixlo_f16 v30, v30, v19, 0 op_sel_hi:[0,1,0]
	v_add_f16_e32 v30, v34, v30
	v_fma_mix_f32 v34, v31, v0, 0 op_sel_hi:[1,1,0]
	v_fma_mix_f32 v0, v32, v0, v34 op_sel:[0,1,0] op_sel_hi:[1,1,0]
	v_fma_mix_f32 v0, v12, v1, v0 op_sel_hi:[1,1,0]
	v_fma_mix_f32 v0, v11, v1, v0 op_sel:[0,1,0] op_sel_hi:[1,1,0]
	v_fma_mix_f32 v0, v10, v2, v0 op_sel_hi:[1,1,0]
	v_fma_mix_f32 v0, v9, v2, v0 op_sel:[0,1,0] op_sel_hi:[1,1,0]
	v_fma_mix_f32 v0, v7, v3, v0 op_sel_hi:[1,1,0]
	v_fma_mix_f32 v0, v6, v3, v0 op_sel:[0,1,0] op_sel_hi:[1,1,0]
	v_fma_mixlo_f16 v0, v0, v19, 0 op_sel:[0,1,0] op_sel_hi:[0,1,0]
	v_add_f16_e32 v0, v63, v0
	v_pack_b32_f16 v34, v30, v0
	ds_read_b128 v[0:3], v29 offset:816
	s_waitcnt lgkmcnt(0)
	v_fma_mix_f32 v30, v53, v0, 0 op_sel_hi:[1,1,0]
	v_fma_mix_f32 v30, v54, v0, v30 op_sel:[0,1,0] op_sel_hi:[1,1,0]
	v_fma_mix_f32 v30, v55, v1, v30 op_sel_hi:[1,1,0]
	v_fma_mix_f32 v30, v56, v1, v30 op_sel:[0,1,0] op_sel_hi:[1,1,0]
	v_fma_mix_f32 v30, v57, v2, v30 op_sel_hi:[1,1,0]
	v_fma_mix_f32 v30, v58, v2, v30 op_sel:[0,1,0] op_sel_hi:[1,1,0]
	v_fma_mix_f32 v30, v59, v3, v30 op_sel_hi:[1,1,0]
	v_fma_mix_f32 v30, v60, v3, v30 op_sel:[0,1,0] op_sel_hi:[1,1,0]
	v_fma_mixlo_f16 v30, v30, v18, 0 op_sel_hi:[0,1,0]
	v_add_f16_e32 v30, v37, v30
	v_fma_mix_f32 v37, v44, v0, 0 op_sel_hi:[1,1,0]
	v_fma_mix_f32 v37, v46, v0, v37 op_sel:[0,1,0] op_sel_hi:[1,1,0]
	v_fma_mix_f32 v37, v47, v1, v37 op_sel_hi:[1,1,0]
	v_fma_mix_f32 v37, v48, v1, v37 op_sel:[0,1,0] op_sel_hi:[1,1,0]
	v_fma_mix_f32 v37, v49, v2, v37 op_sel_hi:[1,1,0]
	v_fma_mix_f32 v37, v50, v2, v37 op_sel:[0,1,0] op_sel_hi:[1,1,0]
	v_fma_mix_f32 v37, v51, v3, v37 op_sel_hi:[1,1,0]
	v_fma_mix_f32 v37, v52, v3, v37 op_sel:[0,1,0] op_sel_hi:[1,1,0]
	v_fma_mixlo_f16 v37, v37, v18, 0 op_sel:[0,1,0] op_sel_hi:[0,1,0]
	v_add_f16_e32 v37, v62, v37
	v_pack_b32_f16 v37, v30, v37
	v_fma_mix_f32 v30, v33, v0, 0 op_sel_hi:[1,1,0]
	v_fma_mix_f32 v30, v38, v0, v30 op_sel:[0,1,0] op_sel_hi:[1,1,0]
	v_fma_mix_f32 v30, v39, v1, v30 op_sel_hi:[1,1,0]
	v_fma_mix_f32 v30, v40, v1, v30 op_sel:[0,1,0] op_sel_hi:[1,1,0]
	v_fma_mix_f32 v30, v41, v2, v30 op_sel_hi:[1,1,0]
	v_fma_mix_f32 v30, v42, v2, v30 op_sel:[0,1,0] op_sel_hi:[1,1,0]
	v_fma_mix_f32 v30, v43, v3, v30 op_sel_hi:[1,1,0]
	v_fma_mix_f32 v30, v45, v3, v30 op_sel:[0,1,0] op_sel_hi:[1,1,0]
	v_fma_mixlo_f16 v30, v30, v19, 0 op_sel_hi:[0,1,0]
	v_add_f16_e32 v30, v36, v30
	v_fma_mix_f32 v36, v31, v0, 0 op_sel_hi:[1,1,0]
	v_fma_mix_f32 v0, v32, v0, v36 op_sel:[0,1,0] op_sel_hi:[1,1,0]
	v_fma_mix_f32 v0, v12, v1, v0 op_sel_hi:[1,1,0]
	v_fma_mix_f32 v0, v11, v1, v0 op_sel:[0,1,0] op_sel_hi:[1,1,0]
	v_fma_mix_f32 v0, v10, v2, v0 op_sel_hi:[1,1,0]
	v_fma_mix_f32 v0, v9, v2, v0 op_sel:[0,1,0] op_sel_hi:[1,1,0]
	v_fma_mix_f32 v0, v7, v3, v0 op_sel_hi:[1,1,0]
	v_fma_mix_f32 v0, v6, v3, v0 op_sel:[0,1,0] op_sel_hi:[1,1,0]
	v_fma_mixlo_f16 v0, v0, v19, 0 op_sel:[0,1,0] op_sel_hi:[0,1,0]
	;; [unrolled: 44-line block ×3, first 2 shown]
	v_add_f16_e32 v0, v4, v0
	v_pack_b32_f16 v38, v5, v0
	s_cbranch_scc1 .LBB34_18
.LBB34_16:                              ; =>This Inner Loop Header: Depth=1
	s_cmp_lg_u32 s18, s8
	s_cbranch_scc1 .LBB34_15
; %bb.17:                               ;   in Loop: Header=BB34_16 Depth=1
	s_add_i32 s17, s17, 1
	s_add_i32 s8, s8, s16
	s_mul_i32 s1, s17, s0
	s_ashr_i32 s9, s1, 31
	v_add_nc_u32_e32 v2, s1, v16
	s_lshr_b32 s9, s9, 30
	s_add_i32 s9, s1, s9
	v_ashrrev_i32_e32 v3, 31, v2
	s_ashr_i32 s9, s9, 2
	v_add_nc_u32_e32 v0, s9, v24
	v_lshlrev_b64 v[2:3], 1, v[2:3]
	v_ashrrev_i32_e32 v1, 31, v0
	v_lshlrev_b64 v[0:1], 2, v[0:1]
	v_add_co_u32 v0, vcc_lo, s10, v0
	v_add_co_ci_u32_e64 v1, null, s11, v1, vcc_lo
	global_load_dword v4, v[0:1], off
	v_add_co_u32 v0, vcc_lo, s12, v2
	v_add_co_ci_u32_e64 v1, null, s13, v3, vcc_lo
	global_load_dwordx2 v[18:19], v[0:1], off
	s_waitcnt vmcnt(1)
	v_and_b32_e32 v25, 0xff, v4
	v_bfe_u32 v26, v4, 8, 8
	v_bfe_u32 v27, v4, 16, 8
	v_lshrrev_b32_e32 v28, 24, v4
	s_branch .LBB34_15
.LBB34_18:
	v_mad_u64_u32 v[0:1], null, s7, s0, v[16:17]
	s_mov_b32 s1, 0
	v_ashrrev_i32_e32 v1, 31, v0
	v_lshlrev_b64 v[1:2], 1, v[0:1]
	v_add_co_u32 v1, vcc_lo, s14, v1
	v_add_co_ci_u32_e64 v2, null, s15, v2, vcc_lo
	global_load_dword v4, v[1:2], off
.LBB34_19:                              ; =>This Inner Loop Header: Depth=1
	s_waitcnt vmcnt(0)
	v_pk_add_f16 v3, v15, v4
	global_atomic_cmpswap v3, v[1:2], v[3:4], off glc
	s_waitcnt vmcnt(0)
	v_cmp_eq_u32_e32 vcc_lo, v4, v3
	v_mov_b32_e32 v4, v3
	s_or_b32 s1, vcc_lo, s1
	s_andn2_b32 exec_lo, exec_lo, s1
	s_cbranch_execnz .LBB34_19
; %bb.20:
	s_or_b32 exec_lo, exec_lo, s1
	global_load_dword v4, v[1:2], off offset:4
	s_mov_b32 s1, 0
.LBB34_21:                              ; =>This Inner Loop Header: Depth=1
	s_waitcnt vmcnt(0)
	v_pk_add_f16 v3, v14, v4
	global_atomic_cmpswap v3, v[1:2], v[3:4], off offset:4 glc
	s_waitcnt vmcnt(0)
	v_cmp_eq_u32_e32 vcc_lo, v4, v3
	v_mov_b32_e32 v4, v3
	s_or_b32 s1, vcc_lo, s1
	s_andn2_b32 exec_lo, exec_lo, s1
	s_cbranch_execnz .LBB34_21
; %bb.22:
	s_or_b32 exec_lo, exec_lo, s1
	v_add_nc_u32_e32 v0, s0, v0
	s_mov_b32 s1, 0
	v_ashrrev_i32_e32 v1, 31, v0
	v_lshlrev_b64 v[1:2], 1, v[0:1]
	v_add_co_u32 v1, vcc_lo, s14, v1
	v_add_co_ci_u32_e64 v2, null, s15, v2, vcc_lo
	global_load_dword v4, v[1:2], off
.LBB34_23:                              ; =>This Inner Loop Header: Depth=1
	s_waitcnt vmcnt(0)
	v_pk_add_f16 v3, v23, v4
	global_atomic_cmpswap v3, v[1:2], v[3:4], off glc
	s_waitcnt vmcnt(0)
	v_cmp_eq_u32_e32 vcc_lo, v4, v3
	v_mov_b32_e32 v4, v3
	s_or_b32 s1, vcc_lo, s1
	s_andn2_b32 exec_lo, exec_lo, s1
	s_cbranch_execnz .LBB34_23
; %bb.24:
	s_or_b32 exec_lo, exec_lo, s1
	global_load_dword v4, v[1:2], off offset:4
	s_mov_b32 s1, 0
.LBB34_25:                              ; =>This Inner Loop Header: Depth=1
	s_waitcnt vmcnt(0)
	v_pk_add_f16 v3, v22, v4
	global_atomic_cmpswap v3, v[1:2], v[3:4], off offset:4 glc
	s_waitcnt vmcnt(0)
	v_cmp_eq_u32_e32 vcc_lo, v4, v3
	v_mov_b32_e32 v4, v3
	s_or_b32 s1, vcc_lo, s1
	s_andn2_b32 exec_lo, exec_lo, s1
	s_cbranch_execnz .LBB34_25
; %bb.26:
	s_or_b32 exec_lo, exec_lo, s1
	v_add_nc_u32_e32 v0, s0, v0
	s_mov_b32 s1, 0
	v_ashrrev_i32_e32 v1, 31, v0
	v_lshlrev_b64 v[1:2], 1, v[0:1]
	v_add_co_u32 v1, vcc_lo, s14, v1
	v_add_co_ci_u32_e64 v2, null, s15, v2, vcc_lo
	global_load_dword v4, v[1:2], off
.LBB34_27:                              ; =>This Inner Loop Header: Depth=1
	s_waitcnt vmcnt(0)
	v_pk_add_f16 v3, v35, v4
	global_atomic_cmpswap v3, v[1:2], v[3:4], off glc
	s_waitcnt vmcnt(0)
	v_cmp_eq_u32_e32 vcc_lo, v4, v3
	v_mov_b32_e32 v4, v3
	s_or_b32 s1, vcc_lo, s1
	s_andn2_b32 exec_lo, exec_lo, s1
	s_cbranch_execnz .LBB34_27
; %bb.28:
	s_or_b32 exec_lo, exec_lo, s1
	global_load_dword v4, v[1:2], off offset:4
	s_mov_b32 s1, 0
.LBB34_29:                              ; =>This Inner Loop Header: Depth=1
	s_waitcnt vmcnt(0)
	v_pk_add_f16 v3, v34, v4
	global_atomic_cmpswap v3, v[1:2], v[3:4], off offset:4 glc
	s_waitcnt vmcnt(0)
	v_cmp_eq_u32_e32 vcc_lo, v4, v3
	v_mov_b32_e32 v4, v3
	s_or_b32 s1, vcc_lo, s1
	s_andn2_b32 exec_lo, exec_lo, s1
	s_cbranch_execnz .LBB34_29
; %bb.30:
	s_or_b32 exec_lo, exec_lo, s1
	v_add_nc_u32_e32 v0, s0, v0
	s_mov_b32 s1, 0
	v_ashrrev_i32_e32 v1, 31, v0
	v_lshlrev_b64 v[1:2], 1, v[0:1]
	v_add_co_u32 v1, vcc_lo, s14, v1
	v_add_co_ci_u32_e64 v2, null, s15, v2, vcc_lo
	global_load_dword v4, v[1:2], off
.LBB34_31:                              ; =>This Inner Loop Header: Depth=1
	s_waitcnt vmcnt(0)
	v_pk_add_f16 v3, v37, v4
	global_atomic_cmpswap v3, v[1:2], v[3:4], off glc
	s_waitcnt vmcnt(0)
	v_cmp_eq_u32_e32 vcc_lo, v4, v3
	v_mov_b32_e32 v4, v3
	s_or_b32 s1, vcc_lo, s1
	s_andn2_b32 exec_lo, exec_lo, s1
	s_cbranch_execnz .LBB34_31
; %bb.32:
	s_or_b32 exec_lo, exec_lo, s1
	global_load_dword v4, v[1:2], off offset:4
	s_mov_b32 s1, 0
.LBB34_33:                              ; =>This Inner Loop Header: Depth=1
	s_waitcnt vmcnt(0)
	v_pk_add_f16 v3, v36, v4
	global_atomic_cmpswap v3, v[1:2], v[3:4], off offset:4 glc
	s_waitcnt vmcnt(0)
	v_cmp_eq_u32_e32 vcc_lo, v4, v3
	v_mov_b32_e32 v4, v3
	s_or_b32 s1, vcc_lo, s1
	s_andn2_b32 exec_lo, exec_lo, s1
	s_cbranch_execnz .LBB34_33
; %bb.34:
	s_or_b32 exec_lo, exec_lo, s1
	v_add_nc_u32_e32 v0, s0, v0
	s_mov_b32 s0, 0
	v_ashrrev_i32_e32 v1, 31, v0
	v_lshlrev_b64 v[0:1], 1, v[0:1]
	v_add_co_u32 v0, vcc_lo, s14, v0
	v_add_co_ci_u32_e64 v1, null, s15, v1, vcc_lo
	global_load_dword v3, v[0:1], off
.LBB34_35:                              ; =>This Inner Loop Header: Depth=1
	s_waitcnt vmcnt(0)
	v_pk_add_f16 v2, v44, v3
	global_atomic_cmpswap v2, v[0:1], v[2:3], off glc
	s_waitcnt vmcnt(0)
	v_cmp_eq_u32_e32 vcc_lo, v3, v2
	v_mov_b32_e32 v3, v2
	s_or_b32 s0, vcc_lo, s0
	s_andn2_b32 exec_lo, exec_lo, s0
	s_cbranch_execnz .LBB34_35
; %bb.36:
	s_or_b32 exec_lo, exec_lo, s0
	global_load_dword v3, v[0:1], off offset:4
	s_mov_b32 s0, 0
.LBB34_37:                              ; =>This Inner Loop Header: Depth=1
	s_waitcnt vmcnt(0)
	v_pk_add_f16 v2, v38, v3
	global_atomic_cmpswap v2, v[0:1], v[2:3], off offset:4 glc
	s_waitcnt vmcnt(0)
	v_cmp_eq_u32_e32 vcc_lo, v3, v2
	v_mov_b32_e32 v3, v2
	s_or_b32 s0, vcc_lo, s0
	s_andn2_b32 exec_lo, exec_lo, s0
	s_cbranch_execnz .LBB34_37
.LBB34_38:
	s_endpgm
	.section	.rodata,"a",@progbits
	.p2align	6, 0x0
	.amdhsa_kernel _ZN4vllm4gptq33gemm_half_q_half_gptq_8bit_kernelILb1ELi5EEEvPK6__halfPKjS6_S4_PS2_iiiibPKi
		.amdhsa_group_segment_fixed_size 1280
		.amdhsa_private_segment_fixed_size 0
		.amdhsa_kernarg_size 72
		.amdhsa_user_sgpr_count 6
		.amdhsa_user_sgpr_private_segment_buffer 1
		.amdhsa_user_sgpr_dispatch_ptr 0
		.amdhsa_user_sgpr_queue_ptr 0
		.amdhsa_user_sgpr_kernarg_segment_ptr 1
		.amdhsa_user_sgpr_dispatch_id 0
		.amdhsa_user_sgpr_flat_scratch_init 0
		.amdhsa_user_sgpr_private_segment_size 0
		.amdhsa_wavefront_size32 1
		.amdhsa_uses_dynamic_stack 0
		.amdhsa_system_sgpr_private_segment_wavefront_offset 0
		.amdhsa_system_sgpr_workgroup_id_x 1
		.amdhsa_system_sgpr_workgroup_id_y 1
		.amdhsa_system_sgpr_workgroup_id_z 1
		.amdhsa_system_sgpr_workgroup_info 0
		.amdhsa_system_vgpr_workitem_id 0
		.amdhsa_next_free_vgpr 92
		.amdhsa_next_free_sgpr 24
		.amdhsa_reserve_vcc 1
		.amdhsa_reserve_flat_scratch 0
		.amdhsa_float_round_mode_32 0
		.amdhsa_float_round_mode_16_64 0
		.amdhsa_float_denorm_mode_32 3
		.amdhsa_float_denorm_mode_16_64 3
		.amdhsa_dx10_clamp 1
		.amdhsa_ieee_mode 1
		.amdhsa_fp16_overflow 0
		.amdhsa_workgroup_processor_mode 1
		.amdhsa_memory_ordered 1
		.amdhsa_forward_progress 1
		.amdhsa_shared_vgpr_count 0
		.amdhsa_exception_fp_ieee_invalid_op 0
		.amdhsa_exception_fp_denorm_src 0
		.amdhsa_exception_fp_ieee_div_zero 0
		.amdhsa_exception_fp_ieee_overflow 0
		.amdhsa_exception_fp_ieee_underflow 0
		.amdhsa_exception_fp_ieee_inexact 0
		.amdhsa_exception_int_div_zero 0
	.end_amdhsa_kernel
	.section	.text._ZN4vllm4gptq33gemm_half_q_half_gptq_8bit_kernelILb1ELi5EEEvPK6__halfPKjS6_S4_PS2_iiiibPKi,"axG",@progbits,_ZN4vllm4gptq33gemm_half_q_half_gptq_8bit_kernelILb1ELi5EEEvPK6__halfPKjS6_S4_PS2_iiiibPKi,comdat
.Lfunc_end34:
	.size	_ZN4vllm4gptq33gemm_half_q_half_gptq_8bit_kernelILb1ELi5EEEvPK6__halfPKjS6_S4_PS2_iiiibPKi, .Lfunc_end34-_ZN4vllm4gptq33gemm_half_q_half_gptq_8bit_kernelILb1ELi5EEEvPK6__halfPKjS6_S4_PS2_iiiibPKi
                                        ; -- End function
	.set _ZN4vllm4gptq33gemm_half_q_half_gptq_8bit_kernelILb1ELi5EEEvPK6__halfPKjS6_S4_PS2_iiiibPKi.num_vgpr, 92
	.set _ZN4vllm4gptq33gemm_half_q_half_gptq_8bit_kernelILb1ELi5EEEvPK6__halfPKjS6_S4_PS2_iiiibPKi.num_agpr, 0
	.set _ZN4vllm4gptq33gemm_half_q_half_gptq_8bit_kernelILb1ELi5EEEvPK6__halfPKjS6_S4_PS2_iiiibPKi.numbered_sgpr, 24
	.set _ZN4vllm4gptq33gemm_half_q_half_gptq_8bit_kernelILb1ELi5EEEvPK6__halfPKjS6_S4_PS2_iiiibPKi.num_named_barrier, 0
	.set _ZN4vllm4gptq33gemm_half_q_half_gptq_8bit_kernelILb1ELi5EEEvPK6__halfPKjS6_S4_PS2_iiiibPKi.private_seg_size, 0
	.set _ZN4vllm4gptq33gemm_half_q_half_gptq_8bit_kernelILb1ELi5EEEvPK6__halfPKjS6_S4_PS2_iiiibPKi.uses_vcc, 1
	.set _ZN4vllm4gptq33gemm_half_q_half_gptq_8bit_kernelILb1ELi5EEEvPK6__halfPKjS6_S4_PS2_iiiibPKi.uses_flat_scratch, 0
	.set _ZN4vllm4gptq33gemm_half_q_half_gptq_8bit_kernelILb1ELi5EEEvPK6__halfPKjS6_S4_PS2_iiiibPKi.has_dyn_sized_stack, 0
	.set _ZN4vllm4gptq33gemm_half_q_half_gptq_8bit_kernelILb1ELi5EEEvPK6__halfPKjS6_S4_PS2_iiiibPKi.has_recursion, 0
	.set _ZN4vllm4gptq33gemm_half_q_half_gptq_8bit_kernelILb1ELi5EEEvPK6__halfPKjS6_S4_PS2_iiiibPKi.has_indirect_call, 0
	.section	.AMDGPU.csdata,"",@progbits
; Kernel info:
; codeLenInByte = 10828
; TotalNumSgprs: 26
; NumVgprs: 92
; ScratchSize: 0
; MemoryBound: 0
; FloatMode: 240
; IeeeMode: 1
; LDSByteSize: 1280 bytes/workgroup (compile time only)
; SGPRBlocks: 0
; VGPRBlocks: 11
; NumSGPRsForWavesPerEU: 26
; NumVGPRsForWavesPerEU: 92
; Occupancy: 10
; WaveLimiterHint : 0
; COMPUTE_PGM_RSRC2:SCRATCH_EN: 0
; COMPUTE_PGM_RSRC2:USER_SGPR: 6
; COMPUTE_PGM_RSRC2:TRAP_HANDLER: 0
; COMPUTE_PGM_RSRC2:TGID_X_EN: 1
; COMPUTE_PGM_RSRC2:TGID_Y_EN: 1
; COMPUTE_PGM_RSRC2:TGID_Z_EN: 1
; COMPUTE_PGM_RSRC2:TIDIG_COMP_CNT: 0
	.section	.text._ZN4vllm4gptq33gemm_half_q_half_gptq_2bit_kernelILb1ELi6EEEvPK6__halfPKjS6_S4_PS2_iiiibPKi,"axG",@progbits,_ZN4vllm4gptq33gemm_half_q_half_gptq_2bit_kernelILb1ELi6EEEvPK6__halfPKjS6_S4_PS2_iiiibPKi,comdat
	.protected	_ZN4vllm4gptq33gemm_half_q_half_gptq_2bit_kernelILb1ELi6EEEvPK6__halfPKjS6_S4_PS2_iiiibPKi ; -- Begin function _ZN4vllm4gptq33gemm_half_q_half_gptq_2bit_kernelILb1ELi6EEEvPK6__halfPKjS6_S4_PS2_iiiibPKi
	.globl	_ZN4vllm4gptq33gemm_half_q_half_gptq_2bit_kernelILb1ELi6EEEvPK6__halfPKjS6_S4_PS2_iiiibPKi
	.p2align	8
	.type	_ZN4vllm4gptq33gemm_half_q_half_gptq_2bit_kernelILb1ELi6EEEvPK6__halfPKjS6_S4_PS2_iiiibPKi,@function
_ZN4vllm4gptq33gemm_half_q_half_gptq_2bit_kernelILb1ELi6EEEvPK6__halfPKjS6_S4_PS2_iiiibPKi: ; @_ZN4vllm4gptq33gemm_half_q_half_gptq_2bit_kernelILb1ELi6EEEvPK6__halfPKjS6_S4_PS2_iiiibPKi
; %bb.0:
	s_load_dwordx4 s[0:3], s[4:5], 0x2c
	s_lshl_b32 s18, s8, 7
	s_mul_i32 s7, s7, 6
	s_add_i32 s8, s18, 0x80
	s_mov_b32 s20, exec_lo
	v_cvt_f64_u32_e32 v[1:2], s8
	s_load_dwordx8 s[8:15], s[4:5], 0x8
	s_waitcnt lgkmcnt(0)
	v_cvt_f64_i32_e32 v[3:4], s1
	v_min_f64 v[1:2], v[1:2], v[3:4]
	v_cvt_i32_f64_e32 v2, v[1:2]
	v_add_nc_u32_e32 v1, s18, v0
	v_readfirstlane_b32 s19, v2
	v_cmpx_lt_u32_e64 v1, v2
	s_cbranch_execz .LBB35_14
; %bb.1:
	s_clause 0x1
	s_load_dwordx2 s[16:17], s[4:5], 0x40
	s_load_dwordx2 s[4:5], s[4:5], 0x0
	v_mov_b32_e32 v2, 0
	v_lshlrev_b64 v[3:4], 2, v[1:2]
	v_mov_b32_e32 v6, v2
	v_mov_b32_e32 v5, v1
	s_waitcnt lgkmcnt(0)
	v_add_co_u32 v3, vcc_lo, s16, v3
	v_add_co_ci_u32_e64 v4, null, s17, v4, vcc_lo
	s_cmp_lg_u64 s[16:17], 0
	s_cselect_b32 s21, -1, 0
	s_cmp_eq_u64 s[16:17], 0
	s_cbranch_scc1 .LBB35_3
; %bb.2:
	global_load_dword v5, v[3:4], off
	s_waitcnt vmcnt(0)
	v_ashrrev_i32_e32 v6, 31, v5
.LBB35_3:
	s_mul_i32 s16, s7, s1
	v_lshlrev_b64 v[5:6], 1, v[5:6]
	s_ashr_i32 s17, s16, 31
	v_cndmask_b32_e64 v8, 0, 1, s21
	s_lshl_b64 s[22:23], s[16:17], 1
	v_lshlrev_b32_e32 v7, 1, v0
	s_add_u32 s17, s4, s22
	s_addc_u32 s22, s5, s23
	v_add_co_u32 v5, vcc_lo, s17, v5
	v_add_co_ci_u32_e64 v6, null, s22, v6, vcc_lo
	s_andn2_b32 vcc_lo, exec_lo, s21
	global_load_ushort v9, v[5:6], off
	v_mov_b32_e32 v6, v2
	v_mov_b32_e32 v5, v1
	s_waitcnt vmcnt(0)
	ds_write_b16 v7, v9
	s_cbranch_vccnz .LBB35_5
; %bb.4:
	global_load_dword v5, v[3:4], off
	s_waitcnt vmcnt(0)
	v_ashrrev_i32_e32 v6, 31, v5
.LBB35_5:
	s_add_i32 s16, s16, s1
	v_lshlrev_b64 v[5:6], 1, v[5:6]
	s_ashr_i32 s17, s16, 31
	s_lshl_b64 s[22:23], s[16:17], 1
	s_add_u32 s17, s4, s22
	s_addc_u32 s21, s5, s23
	v_add_co_u32 v5, vcc_lo, s17, v5
	v_add_co_ci_u32_e64 v6, null, s21, v6, vcc_lo
	v_cmp_ne_u32_e32 vcc_lo, 1, v8
	global_load_ushort v9, v[5:6], off
	v_mov_b32_e32 v6, v2
	v_mov_b32_e32 v5, v1
	s_waitcnt vmcnt(0)
	ds_write_b16 v7, v9 offset:256
	s_cbranch_vccnz .LBB35_7
; %bb.6:
	global_load_dword v5, v[3:4], off
	s_waitcnt vmcnt(0)
	v_ashrrev_i32_e32 v6, 31, v5
.LBB35_7:
	s_add_i32 s16, s16, s1
	v_lshlrev_b64 v[5:6], 1, v[5:6]
	s_ashr_i32 s17, s16, 31
	s_lshl_b64 s[22:23], s[16:17], 1
	s_add_u32 s17, s4, s22
	s_addc_u32 s21, s5, s23
	v_add_co_u32 v5, vcc_lo, s17, v5
	v_add_co_ci_u32_e64 v6, null, s21, v6, vcc_lo
	v_cmp_ne_u32_e32 vcc_lo, 1, v8
	global_load_ushort v9, v[5:6], off
	v_mov_b32_e32 v6, v2
	v_mov_b32_e32 v5, v1
	s_waitcnt vmcnt(0)
	ds_write_b16 v7, v9 offset:512
	;; [unrolled: 20-line block ×3, first 2 shown]
	s_cbranch_vccnz .LBB35_11
; %bb.10:
	global_load_dword v5, v[3:4], off
	s_waitcnt vmcnt(0)
	v_ashrrev_i32_e32 v6, 31, v5
.LBB35_11:
	s_add_i32 s16, s16, s1
	v_lshlrev_b64 v[5:6], 1, v[5:6]
	s_ashr_i32 s17, s16, 31
	s_lshl_b64 s[22:23], s[16:17], 1
	s_add_u32 s17, s4, s22
	s_addc_u32 s21, s5, s23
	v_add_co_u32 v5, vcc_lo, s17, v5
	v_add_co_ci_u32_e64 v6, null, s21, v6, vcc_lo
	v_cmp_ne_u32_e32 vcc_lo, 1, v8
	global_load_ushort v5, v[5:6], off
	s_waitcnt vmcnt(0)
	ds_write_b16 v7, v5 offset:1024
	s_cbranch_vccnz .LBB35_13
; %bb.12:
	global_load_dword v1, v[3:4], off
	s_waitcnt vmcnt(0)
	v_ashrrev_i32_e32 v2, 31, v1
.LBB35_13:
	s_add_i32 s16, s16, s1
	v_lshlrev_b64 v[1:2], 1, v[1:2]
	s_ashr_i32 s17, s16, 31
	s_lshl_b64 s[16:17], s[16:17], 1
	s_add_u32 s4, s4, s16
	s_addc_u32 s5, s5, s17
	v_add_co_u32 v1, vcc_lo, s4, v1
	v_add_co_ci_u32_e64 v2, null, s5, v2, vcc_lo
	global_load_ushort v1, v[1:2], off
	s_waitcnt vmcnt(0)
	ds_write_b16 v7, v1 offset:1280
.LBB35_14:
	s_or_b32 exec_lo, exec_lo, s20
	v_lshlrev_b32_e32 v1, 2, v0
	s_mov_b32 s4, exec_lo
	v_lshl_add_u32 v1, s6, 9, v1
	v_cmpx_gt_i32_e64 s0, v1
	s_cbranch_execz .LBB35_44
; %bb.15:
	s_abs_i32 s5, s2
	v_mov_b32_e32 v33, 0
	v_cvt_f32_u32_e32 v2, s5
	v_mov_b32_e32 v31, 0
	v_mov_b32_e32 v30, 0
	;; [unrolled: 1-line block ×4, first 2 shown]
	v_rcp_iflag_f32_e32 v2, v2
	v_mov_b32_e32 v27, 0
	v_mov_b32_e32 v26, 0
	;; [unrolled: 1-line block ×7, first 2 shown]
	s_cmp_ge_i32 s18, s19
	s_mov_b32 s4, 0
	v_mul_f32_e32 v2, 0x4f7ffffe, v2
	s_waitcnt lgkmcnt(0)
	s_barrier
	buffer_gl0_inv
	v_cvt_u32_f32_e32 v2, v2
	v_readfirstlane_b32 s6, v2
	s_cbranch_scc1 .LBB35_20
; %bb.16:
	s_sub_i32 s16, 0, s5
	s_abs_i32 s17, s1
	s_mul_i32 s16, s16, s6
	s_ashr_i32 s1, s1, 31
	s_mul_hi_u32 s16, s6, s16
	s_ashr_i32 s2, s2, 31
	s_add_i32 s6, s6, s16
	s_xor_b32 s1, s1, s2
	s_mul_hi_u32 s6, s17, s6
	v_lshlrev_b32_e32 v8, 3, v0
	s_mul_i32 s16, s6, s5
	v_mov_b32_e32 v21, 0
	s_sub_i32 s2, s17, s16
	s_add_i32 s16, s6, 1
	s_sub_i32 s17, s2, s5
	s_cmp_ge_u32 s2, s5
	v_and_b32_e32 v34, 24, v8
	s_cselect_b32 s6, s16, s6
	s_cselect_b32 s2, s17, s2
	s_add_i32 s16, s6, 1
	s_cmp_ge_u32 s2, s5
	v_mov_b32_e32 v0, 0x10001
	s_cselect_b32 s2, s16, s6
	v_mov_b32_e32 v22, 0
	s_xor_b32 s2, s2, s1
	v_mov_b32_e32 v23, 0
	s_sub_i32 s5, s2, s1
	s_bitcmp1_b32 s3, 0
	v_cvt_f32_u32_e32 v2, s5
	s_cselect_b32 s2, -1, 0
	s_sub_i32 s3, 0, s5
	s_xor_b32 s20, s2, -1
	v_mov_b32_e32 v24, 0
	v_rcp_iflag_f32_e32 v2, v2
	v_mov_b32_e32 v25, 0
	v_mov_b32_e32 v26, 0
	;; [unrolled: 1-line block ×8, first 2 shown]
	s_mov_b32 s16, 0x10001
	v_mul_f32_e32 v2, 0x4f7ffffe, v2
	s_mov_b32 s17, 0x30003
	v_cvt_u32_f32_e32 v2, v2
	v_readfirstlane_b32 s1, v2
	v_ashrrev_i32_e32 v2, 31, v1
	s_mul_i32 s3, s3, s1
	v_lshrrev_b32_e32 v3, 28, v2
	s_mul_hi_u32 s3, s1, s3
	s_add_i32 s1, s1, s3
	v_add_nc_u32_e32 v3, v1, v3
	s_mul_hi_u32 s1, s18, s1
	s_mul_i32 s3, s1, s5
	s_sub_i32 s2, s18, s3
	s_add_i32 s3, s1, 1
	s_sub_i32 s6, s2, s5
	s_cmp_ge_u32 s2, s5
	v_ashrrev_i32_e32 v32, 4, v3
	s_cselect_b32 s1, s3, s1
	s_cselect_b32 s2, s6, s2
	s_add_i32 s3, s1, 1
	s_cmp_ge_u32 s2, s5
	s_cselect_b32 s6, s3, s1
	s_mul_i32 s1, s6, s0
	s_ashr_i32 s2, s1, 31
	v_add_nc_u32_e32 v5, s1, v1
	s_lshr_b32 s2, s2, 28
	s_add_i32 s2, s1, s2
	s_lshr_b32 s1, s18, 4
	s_ashr_i32 s2, s2, 4
	v_ashrrev_i32_e32 v6, 31, v5
	v_add_nc_u32_e32 v3, s2, v32
	s_mul_i32 s2, s0, s1
	s_ashr_i32 s1, s0, 31
	s_ashr_i32 s3, s2, 31
	v_ashrrev_i32_e32 v4, 31, v3
	s_lshl_b64 s[2:3], s[2:3], 2
	v_lshlrev_b64 v[3:4], 2, v[3:4]
	v_add_co_u32 v3, vcc_lo, s10, v3
	v_add_co_ci_u32_e64 v4, null, s11, v4, vcc_lo
	global_load_dword v7, v[3:4], off
	v_lshlrev_b64 v[3:4], 1, v[5:6]
	v_lshlrev_b64 v[5:6], 2, v[1:2]
	v_cndmask_b32_e64 v2, 0, 1, s20
	s_add_i32 s20, s5, s18
	s_add_u32 s8, s8, s2
	s_addc_u32 s9, s9, s3
	v_add_co_u32 v3, vcc_lo, s12, v3
	v_add_co_ci_u32_e64 v4, null, s13, v4, vcc_lo
	v_add_co_u32 v5, vcc_lo, s8, v5
	v_add_co_ci_u32_e64 v6, null, s9, v6, vcc_lo
	global_load_dwordx2 v[3:4], v[3:4], off
	v_add_co_u32 v5, vcc_lo, v5, 8
	v_add_co_ci_u32_e64 v6, null, 0, v6, vcc_lo
	s_lshl_b64 s[2:3], s[0:1], 2
	s_mov_b32 s1, 0xc000c
	s_mov_b32 s8, 0x300030
	;; [unrolled: 1-line block ×3, first 2 shown]
	s_waitcnt vmcnt(1)
	v_lshrrev_b32_e32 v8, v8, v7
	v_bfe_u32 v35, v7, v34, 2
	v_bfe_u32 v36, v8, 2, 2
	v_bfe_u32 v37, v8, 4, 2
	v_bfe_u32 v38, v8, 6, 2
	s_branch .LBB35_18
.LBB35_17:                              ;   in Loop: Header=BB35_18 Depth=1
	global_load_dwordx4 v[39:42], v[5:6], off offset:-8
	v_add_nc_u32_e32 v7, v35, v2
	v_add_nc_u32_e32 v8, v36, v2
	;; [unrolled: 1-line block ×4, first 2 shown]
	v_mov_b32_e32 v15, s4
	v_cvt_f32_i32_e32 v11, v7
	v_cvt_f32_i32_e32 v12, v8
	;; [unrolled: 1-line block ×4, first 2 shown]
	v_and_b32_e32 v8, 0x1bff, v8
	v_cvt_f16_f32_e32 v51, v11
	v_cvt_f16_f32_e32 v52, v12
	;; [unrolled: 1-line block ×4, first 2 shown]
	ds_read2_b32 v[43:44], v15 offset1:1
	ds_read2_b32 v[66:67], v15 offset0:64 offset1:65
	ds_read2_b32 v[68:69], v15 offset0:128 offset1:129
	v_and_b32_e32 v7, 0x1bff, v7
	v_and_b32_e32 v9, 0x1bff, v9
	;; [unrolled: 1-line block ×3, first 2 shown]
	v_mad_u32_u24 v13, v8, s16, 0xe400e400
	v_sub_f16_e32 v8, 0xdc00, v51
	v_sub_f16_e32 v11, 0xdc00, v52
	;; [unrolled: 1-line block ×4, first 2 shown]
	v_mad_u32_u24 v14, v7, s16, 0xe400e400
	v_mad_u32_u24 v9, v9, s16, 0xe400e400
	;; [unrolled: 1-line block ×3, first 2 shown]
	v_mul_u32_u24_sdwa v17, v8, v0 dst_sel:DWORD dst_unused:UNUSED_PAD src0_sel:WORD_0 src1_sel:DWORD
	v_mul_u32_u24_sdwa v16, v11, v0 dst_sel:DWORD dst_unused:UNUSED_PAD src0_sel:WORD_0 src1_sel:DWORD
	;; [unrolled: 1-line block ×4, first 2 shown]
	s_add_i32 s21, s4, 0x400
	s_add_i32 s22, s4, 0x418
	v_add_co_u32 v5, vcc_lo, v5, s2
	v_add_co_ci_u32_e64 v6, null, s3, v6, vcc_lo
	s_add_i32 s18, s18, 16
	s_waitcnt vmcnt(0)
	v_and_or_b32 v20, v39, s17, 0x64006400
	v_and_or_b32 v45, v39, s1, 0x64006400
	v_and_or_b32 v54, v39, s8, 0x64006400
	v_and_or_b32 v55, v39, s9, 0x64006400
	v_lshrrev_b32_e32 v19, 8, v39
	v_and_or_b32 v39, v40, s17, 0x64006400
	v_and_or_b32 v46, v40, s1, 0x64006400
	v_and_or_b32 v56, v40, s8, 0x64006400
	v_and_or_b32 v57, v40, s9, 0x64006400
	v_lshrrev_b32_e32 v18, 8, v40
	;; [unrolled: 5-line block ×3, first 2 shown]
	v_and_or_b32 v41, v42, s17, 0x64006400
	v_and_or_b32 v48, v42, s1, 0x64006400
	v_pk_add_f16 v62, v14, v20
	v_pk_add_f16 v64, v13, v39
	;; [unrolled: 1-line block ×4, first 2 shown]
	v_and_or_b32 v60, v42, s8, 0x64006400
	v_and_or_b32 v61, v42, s9, 0x64006400
	v_lshrrev_b32_e32 v10, 8, v42
	v_pk_fma_f16 v63, 0x3400, v45, v17 op_sel_hi:[0,1,1]
	v_pk_fma_f16 v65, 0x3400, v46, v16 op_sel_hi:[0,1,1]
	;; [unrolled: 1-line block ×4, first 2 shown]
	s_waitcnt lgkmcnt(2)
	v_pk_fma_f16 v20, v62, v43, 0
	v_pk_fma_f16 v39, v64, v43, 0
	;; [unrolled: 1-line block ×4, first 2 shown]
	s_waitcnt lgkmcnt(1)
	v_pk_fma_f16 v42, v62, v66, 0
	v_pk_fma_f16 v43, v64, v66, 0
	;; [unrolled: 1-line block ×8, first 2 shown]
	s_waitcnt lgkmcnt(0)
	v_pk_fma_f16 v20, v62, v68, 0
	v_pk_fma_f16 v39, v64, v68, 0
	;; [unrolled: 1-line block ×8, first 2 shown]
	ds_read2_b32 v[67:68], v15 offset0:192 offset1:193
	v_pk_fma_f16 v20, v63, v69, v20
	v_pk_fma_f16 v39, v65, v69, v39
	;; [unrolled: 1-line block ×4, first 2 shown]
	s_waitcnt lgkmcnt(0)
	v_pk_fma_f16 v66, v62, v67, 0
	v_pk_fma_f16 v69, v64, v67, 0
	;; [unrolled: 1-line block ×8, first 2 shown]
	v_mov_b32_e32 v67, s21
	s_add_i32 s21, s4, 0x500
	ds_read2_b32 v[80:81], v67 offset1:1
	s_waitcnt lgkmcnt(0)
	v_pk_fma_f16 v68, v64, v80, 0
	v_pk_fma_f16 v67, v62, v80, 0
	;; [unrolled: 1-line block ×8, first 2 shown]
	v_mov_b32_e32 v68, s21
	s_add_i32 s21, s4, 0x408
	ds_read2_b32 v[80:81], v68 offset1:1
	s_waitcnt lgkmcnt(0)
	v_pk_fma_f16 v62, v62, v80, 0
	v_pk_fma_f16 v68, v63, v81, v62
	;; [unrolled: 1-line block ×3, first 2 shown]
	v_sub_f16_e32 v63, 0xd400, v52
	v_sub_f16_e32 v52, 0xcc00, v52
	v_pk_fma_f16 v71, v65, v81, v62
	v_pk_fma_f16 v62, v74, v80, 0
	;; [unrolled: 1-line block ×4, first 2 shown]
	v_sub_f16_e32 v80, 0xd400, v50
	v_sub_f16_e32 v50, 0xcc00, v50
	;; [unrolled: 1-line block ×3, first 2 shown]
	v_pk_fma_f16 v77, v79, v81, v62
	v_sub_f16_e32 v62, 0xd400, v51
	v_sub_f16_e32 v51, 0xcc00, v51
	;; [unrolled: 1-line block ×3, first 2 shown]
	v_mul_u32_u24_sdwa v50, v50, v0 dst_sel:DWORD dst_unused:UNUSED_PAD src0_sel:WORD_0 src1_sel:DWORD
	v_mul_u32_u24_sdwa v53, v78, v0 dst_sel:DWORD dst_unused:UNUSED_PAD src0_sel:WORD_0 src1_sel:DWORD
	v_mul_u32_u24_sdwa v65, v62, v0 dst_sel:DWORD dst_unused:UNUSED_PAD src0_sel:WORD_0 src1_sel:DWORD
	v_mul_u32_u24_sdwa v64, v51, v0 dst_sel:DWORD dst_unused:UNUSED_PAD src0_sel:WORD_0 src1_sel:DWORD
	v_mul_u32_u24_sdwa v62, v63, v0 dst_sel:DWORD dst_unused:UNUSED_PAD src0_sel:WORD_0 src1_sel:DWORD
	v_mul_u32_u24_sdwa v63, v52, v0 dst_sel:DWORD dst_unused:UNUSED_PAD src0_sel:WORD_0 src1_sel:DWORD
	v_mul_u32_u24_sdwa v52, v79, v0 dst_sel:DWORD dst_unused:UNUSED_PAD src0_sel:WORD_0 src1_sel:DWORD
	v_mul_u32_u24_sdwa v51, v80, v0 dst_sel:DWORD dst_unused:UNUSED_PAD src0_sel:WORD_0 src1_sel:DWORD
	v_pk_fma_f16 v78, 0x2c00, v54, v65 op_sel_hi:[0,1,1]
	v_pk_fma_f16 v54, 0x2400, v55, v64 op_sel_hi:[0,1,1]
	;; [unrolled: 1-line block ×7, first 2 shown]
	ds_read2_b32 v[60:61], v15 offset0:2 offset1:3
	v_pk_fma_f16 v58, 0x2c00, v58, v53 op_sel_hi:[0,1,1]
	s_waitcnt lgkmcnt(0)
	v_pk_fma_f16 v46, v78, v60, v46
	v_pk_fma_f16 v47, v79, v60, v47
	v_pk_fma_f16 v48, v58, v60, v48
	v_pk_fma_f16 v49, v59, v60, v49
	v_pk_fma_f16 v80, v54, v61, v46
	v_pk_fma_f16 v81, v55, v61, v47
	ds_read2_b32 v[46:47], v15 offset0:66 offset1:67
	v_pk_fma_f16 v48, v56, v61, v48
	v_pk_fma_f16 v49, v57, v61, v49
	s_waitcnt lgkmcnt(0)
	v_pk_fma_f16 v42, v78, v46, v42
	v_pk_fma_f16 v43, v79, v46, v43
	;; [unrolled: 1-line block ×6, first 2 shown]
	ds_read2_b32 v[42:43], v15 offset0:130 offset1:131
	v_pk_fma_f16 v84, v57, v47, v45
	v_and_or_b32 v45, v12, s17, 0x64006400
	v_pk_fma_f16 v44, v56, v47, v44
	s_waitcnt lgkmcnt(0)
	v_pk_fma_f16 v39, v79, v42, v39
	v_pk_fma_f16 v40, v58, v42, v40
	;; [unrolled: 1-line block ×6, first 2 shown]
	ds_read2_b32 v[39:40], v15 offset0:194 offset1:195
	v_pk_fma_f16 v85, v54, v43, v20
	v_pk_fma_f16 v88, v57, v43, v41
	v_and_or_b32 v43, v18, s9, 0x64006400
	s_waitcnt lgkmcnt(0)
	v_pk_fma_f16 v20, v78, v39, v66
	v_pk_fma_f16 v41, v79, v39, v69
	;; [unrolled: 1-line block ×5, first 2 shown]
	v_mov_b32_e32 v20, s21
	v_pk_fma_f16 v75, v55, v40, v41
	v_pk_fma_f16 v60, v56, v40, v42
	;; [unrolled: 1-line block ×3, first 2 shown]
	s_add_i32 s21, s4, 0x508
	ds_read2_b32 v[39:40], v20 offset1:1
	s_waitcnt lgkmcnt(0)
	v_pk_fma_f16 v20, v78, v39, v67
	v_pk_fma_f16 v41, v79, v39, v70
	;; [unrolled: 1-line block ×5, first 2 shown]
	v_mov_b32_e32 v20, s21
	v_pk_fma_f16 v73, v55, v40, v41
	v_pk_fma_f16 v66, v56, v40, v42
	;; [unrolled: 1-line block ×3, first 2 shown]
	s_add_i32 s21, s4, 0x410
	ds_read2_b32 v[39:40], v20 offset1:1
	s_waitcnt lgkmcnt(0)
	v_pk_fma_f16 v20, v78, v39, v68
	v_pk_fma_f16 v41, v79, v39, v71
	;; [unrolled: 1-line block ×8, first 2 shown]
	v_and_or_b32 v39, v19, s17, 0x64006400
	v_and_or_b32 v40, v19, s1, 0x64006400
	v_pk_add_f16 v57, v14, v39
	v_and_or_b32 v14, v19, s8, 0x64006400
	v_and_or_b32 v19, v19, s9, 0x64006400
	v_pk_fma_f16 v17, 0x3400, v40, v17 op_sel_hi:[0,1,1]
	v_and_or_b32 v40, v18, s17, 0x64006400
	v_pk_fma_f16 v41, 0x2c00, v14, v65 op_sel_hi:[0,1,1]
	;; [unrolled: 2-line block ×3, first 2 shown]
	v_and_or_b32 v19, v18, s8, 0x64006400
	v_pk_add_f16 v64, v13, v40
	v_pk_fma_f16 v40, 0x2400, v43, v63 op_sel_hi:[0,1,1]
	v_pk_fma_f16 v18, 0x3400, v14, v16 op_sel_hi:[0,1,1]
	v_and_or_b32 v16, v12, s1, 0x64006400
	v_pk_fma_f16 v42, 0x2c00, v19, v62 op_sel_hi:[0,1,1]
	ds_read2_b32 v[13:14], v15 offset0:4 offset1:5
	v_pk_add_f16 v19, v9, v45
	v_and_or_b32 v9, v12, s8, 0x64006400
	v_and_or_b32 v12, v12, s9, 0x64006400
	v_pk_fma_f16 v69, 0x3400, v16, v11 op_sel_hi:[0,1,1]
	v_and_or_b32 v11, v10, s17, 0x64006400
	v_mov_b32_e32 v62, s21
	v_pk_fma_f16 v46, 0x2c00, v9, v53 op_sel_hi:[0,1,1]
	v_pk_fma_f16 v43, 0x2400, v12, v52 op_sel_hi:[0,1,1]
	v_and_or_b32 v9, v10, s1, 0x64006400
	v_pk_add_f16 v16, v7, v11
	ds_read2_b32 v[11:12], v15 offset0:68 offset1:69
	v_and_or_b32 v7, v10, s8, 0x64006400
	s_add_i32 s21, s4, 0x510
	v_pk_fma_f16 v47, 0x3400, v9, v8 op_sel_hi:[0,1,1]
	v_and_or_b32 v10, v10, s9, 0x64006400
	v_pk_fma_f16 v45, 0x2c00, v7, v51 op_sel_hi:[0,1,1]
	s_waitcnt lgkmcnt(1)
	v_pk_fma_f16 v9, v19, v13, v48
	v_pk_fma_f16 v7, v57, v13, v80
	v_pk_fma_f16 v8, v64, v13, v81
	v_pk_fma_f16 v13, v16, v13, v49
	v_pk_fma_f16 v51, v69, v14, v9
	v_pk_fma_f16 v48, v17, v14, v7
	v_pk_fma_f16 v49, v18, v14, v8
	v_pk_fma_f16 v52, v47, v14, v13
	ds_read2_b32 v[7:8], v15 offset0:132 offset1:133
	s_waitcnt lgkmcnt(1)
	v_pk_fma_f16 v9, v57, v11, v82
	v_pk_fma_f16 v13, v64, v11, v83
	;; [unrolled: 1-line block ×4, first 2 shown]
	v_pk_fma_f16 v44, 0x2400, v10, v50 op_sel_hi:[0,1,1]
	v_pk_fma_f16 v53, v17, v12, v9
	v_mov_b32_e32 v9, s21
	v_pk_fma_f16 v54, v18, v12, v13
	v_pk_fma_f16 v55, v69, v12, v14
	;; [unrolled: 1-line block ×3, first 2 shown]
	ds_read2_b32 v[11:12], v15 offset0:196 offset1:197
	ds_read2_b32 v[13:14], v62 offset1:1
	ds_read2_b32 v[9:10], v9 offset1:1
	s_add_i32 s21, s4, 0x518
	s_add_i32 s4, s4, 32
	s_cmp_ge_i32 s18, s19
	s_waitcnt lgkmcnt(3)
	v_pk_fma_f16 v50, v57, v7, v85
	v_pk_fma_f16 v50, v17, v8, v50
	s_waitcnt lgkmcnt(2)
	v_pk_fma_f16 v62, v57, v11, v72
	s_waitcnt lgkmcnt(1)
	;; [unrolled: 2-line block ×3, first 2 shown]
	v_pk_fma_f16 v70, v57, v9, v58
	v_pk_fma_f16 v57, v64, v7, v86
	v_pk_fma_f16 v63, v64, v11, v75
	v_pk_fma_f16 v71, v64, v13, v73
	v_pk_fma_f16 v72, v64, v9, v59
	v_pk_fma_f16 v64, v19, v11, v60
	v_pk_fma_f16 v58, v19, v7, v87
	v_pk_fma_f16 v7, v16, v7, v88
	v_pk_fma_f16 v11, v16, v11, v61
	v_pk_fma_f16 v66, v19, v13, v66
	v_pk_fma_f16 v13, v16, v13, v67
	v_pk_fma_f16 v60, v17, v12, v62
	v_pk_fma_f16 v62, v69, v12, v64
	v_pk_fma_f16 v64, v17, v14, v65
	v_pk_fma_f16 v68, v19, v9, v68
	v_mov_b32_e32 v19, s22
	v_pk_fma_f16 v70, v17, v10, v70
	v_mov_b32_e32 v17, s21
	v_pk_fma_f16 v57, v18, v8, v57
	v_pk_fma_f16 v58, v69, v8, v58
	;; [unrolled: 1-line block ×3, first 2 shown]
	ds_read2_b32 v[7:8], v15 offset0:6 offset1:7
	v_pk_fma_f16 v61, v18, v12, v63
	v_pk_fma_f16 v63, v47, v12, v11
	ds_read2_b32 v[11:12], v15 offset0:70 offset1:71
	v_pk_fma_f16 v65, v18, v14, v71
	v_pk_fma_f16 v66, v69, v14, v66
	;; [unrolled: 1-line block ×3, first 2 shown]
	ds_read2_b32 v[13:14], v15 offset0:134 offset1:135
	v_pk_fma_f16 v9, v16, v9, v20
	v_pk_fma_f16 v71, v18, v10, v72
	ds_read2_b32 v[19:20], v19 offset1:1
	ds_read2_b32 v[17:18], v17 offset1:1
	ds_read2_b32 v[15:16], v15 offset0:198 offset1:199
	v_pk_fma_f16 v68, v69, v10, v68
	v_pk_fma_f16 v9, v47, v10, v9
	s_waitcnt lgkmcnt(5)
	v_pk_fma_f16 v10, v41, v7, v48
	v_pk_fma_f16 v47, v42, v7, v49
	v_pk_fma_f16 v48, v46, v7, v51
	v_pk_fma_f16 v7, v45, v7, v52
	s_waitcnt lgkmcnt(4)
	v_pk_fma_f16 v49, v41, v11, v53
	v_pk_fma_f16 v51, v42, v11, v54
	;; [unrolled: 5-line block ×4, first 2 shown]
	v_pk_fma_f16 v57, v46, v15, v62
	v_pk_fma_f16 v15, v45, v15, v63
	;; [unrolled: 1-line block ×34, first 2 shown]
	v_pack_b32_f16 v18, v10, v17
	v_perm_b32 v10, v17, v10, 0x7060302
	v_pack_b32_f16 v17, v8, v47
	v_perm_b32 v8, v47, v8, 0x7060302
	;; [unrolled: 2-line block ×5, first 2 shown]
	v_pk_add_f16 v8, v17, v8
	v_pack_b32_f16 v42, v14, v51
	v_pk_add_f16 v7, v39, v7
	v_perm_b32 v14, v51, v14, 0x7060302
	v_pack_b32_f16 v43, v16, v53
	v_perm_b32 v16, v53, v16, 0x7060302
	v_pack_b32_f16 v45, v48, v11
	;; [unrolled: 2-line block ×5, first 2 shown]
	v_pk_add_f16 v10, v18, v10
	v_pk_add_f16 v12, v41, v12
	v_pk_fma_f16 v30, v8, v3, v30
	v_pk_fma_f16 v31, v7, v4, v31
	v_perm_b32 v7, v19, v54, 0x7060302
	v_pack_b32_f16 v8, v40, v9
	v_perm_b32 v9, v9, v40, 0x7060302
	v_pk_add_f16 v14, v42, v14
	v_pk_add_f16 v16, v43, v16
	v_pk_add_f16 v17, v44, v20
	v_pk_fma_f16 v33, v10, v3, v33
	v_pk_fma_f16 v28, v12, v3, v28
	v_pk_add_f16 v10, v45, v11
	v_pk_add_f16 v11, v46, v13
	;; [unrolled: 1-line block ×5, first 2 shown]
	v_pk_fma_f16 v26, v14, v3, v26
	v_pk_fma_f16 v24, v16, v3, v24
	;; [unrolled: 1-line block ×8, first 2 shown]
	s_cbranch_scc1 .LBB35_20
.LBB35_18:                              ; =>This Inner Loop Header: Depth=1
	s_cmp_lg_u32 s18, s20
	s_cbranch_scc1 .LBB35_17
; %bb.19:                               ;   in Loop: Header=BB35_18 Depth=1
	s_add_i32 s6, s6, 1
	s_add_i32 s20, s20, s5
	s_mul_i32 s21, s6, s0
	s_ashr_i32 s22, s21, 31
	v_add_nc_u32_e32 v7, s21, v1
	s_lshr_b32 s22, s22, 28
	s_add_i32 s22, s21, s22
	v_ashrrev_i32_e32 v8, 31, v7
	s_ashr_i32 s22, s22, 4
	s_waitcnt vmcnt(0)
	v_add_nc_u32_e32 v3, s22, v32
	v_lshlrev_b64 v[7:8], 1, v[7:8]
	v_ashrrev_i32_e32 v4, 31, v3
	v_lshlrev_b64 v[3:4], 2, v[3:4]
	v_add_co_u32 v3, vcc_lo, s10, v3
	v_add_co_ci_u32_e64 v4, null, s11, v4, vcc_lo
	global_load_dword v9, v[3:4], off
	v_add_co_u32 v3, vcc_lo, s12, v7
	v_add_co_ci_u32_e64 v4, null, s13, v8, vcc_lo
	global_load_dwordx2 v[3:4], v[3:4], off
	s_waitcnt vmcnt(1)
	v_lshrrev_b32_e32 v7, v34, v9
	v_bfe_u32 v35, v9, v34, 2
	v_bfe_u32 v36, v7, 2, 2
	;; [unrolled: 1-line block ×4, first 2 shown]
	s_branch .LBB35_17
.LBB35_20:
	v_mad_u64_u32 v[0:1], null, s7, s0, v[1:2]
	s_mov_b32 s1, 0
	v_ashrrev_i32_e32 v1, 31, v0
	v_lshlrev_b64 v[1:2], 1, v[0:1]
	v_add_co_u32 v1, vcc_lo, s14, v1
	v_add_co_ci_u32_e64 v2, null, s15, v2, vcc_lo
	global_load_dword v4, v[1:2], off
.LBB35_21:                              ; =>This Inner Loop Header: Depth=1
	s_waitcnt vmcnt(0)
	v_pk_add_f16 v3, v33, v4
	global_atomic_cmpswap v3, v[1:2], v[3:4], off glc
	s_waitcnt vmcnt(0)
	v_cmp_eq_u32_e32 vcc_lo, v4, v3
	v_mov_b32_e32 v4, v3
	s_or_b32 s1, vcc_lo, s1
	s_andn2_b32 exec_lo, exec_lo, s1
	s_cbranch_execnz .LBB35_21
; %bb.22:
	s_or_b32 exec_lo, exec_lo, s1
	global_load_dword v4, v[1:2], off offset:4
	s_mov_b32 s1, 0
.LBB35_23:                              ; =>This Inner Loop Header: Depth=1
	s_waitcnt vmcnt(0)
	v_pk_add_f16 v3, v31, v4
	global_atomic_cmpswap v3, v[1:2], v[3:4], off offset:4 glc
	s_waitcnt vmcnt(0)
	v_cmp_eq_u32_e32 vcc_lo, v4, v3
	v_mov_b32_e32 v4, v3
	s_or_b32 s1, vcc_lo, s1
	s_andn2_b32 exec_lo, exec_lo, s1
	s_cbranch_execnz .LBB35_23
; %bb.24:
	s_or_b32 exec_lo, exec_lo, s1
	v_add_nc_u32_e32 v0, s0, v0
	s_mov_b32 s1, 0
	v_ashrrev_i32_e32 v1, 31, v0
	v_lshlrev_b64 v[1:2], 1, v[0:1]
	v_add_co_u32 v1, vcc_lo, s14, v1
	v_add_co_ci_u32_e64 v2, null, s15, v2, vcc_lo
	global_load_dword v4, v[1:2], off
.LBB35_25:                              ; =>This Inner Loop Header: Depth=1
	s_waitcnt vmcnt(0)
	v_pk_add_f16 v3, v30, v4
	global_atomic_cmpswap v3, v[1:2], v[3:4], off glc
	s_waitcnt vmcnt(0)
	v_cmp_eq_u32_e32 vcc_lo, v4, v3
	v_mov_b32_e32 v4, v3
	s_or_b32 s1, vcc_lo, s1
	s_andn2_b32 exec_lo, exec_lo, s1
	s_cbranch_execnz .LBB35_25
; %bb.26:
	s_or_b32 exec_lo, exec_lo, s1
	global_load_dword v4, v[1:2], off offset:4
	s_mov_b32 s1, 0
.LBB35_27:                              ; =>This Inner Loop Header: Depth=1
	s_waitcnt vmcnt(0)
	v_pk_add_f16 v3, v29, v4
	global_atomic_cmpswap v3, v[1:2], v[3:4], off offset:4 glc
	s_waitcnt vmcnt(0)
	v_cmp_eq_u32_e32 vcc_lo, v4, v3
	v_mov_b32_e32 v4, v3
	s_or_b32 s1, vcc_lo, s1
	s_andn2_b32 exec_lo, exec_lo, s1
	s_cbranch_execnz .LBB35_27
; %bb.28:
	s_or_b32 exec_lo, exec_lo, s1
	v_add_nc_u32_e32 v0, s0, v0
	;; [unrolled: 33-line block ×5, first 2 shown]
	s_mov_b32 s0, 0
	v_ashrrev_i32_e32 v1, 31, v0
	v_lshlrev_b64 v[0:1], 1, v[0:1]
	v_add_co_u32 v0, vcc_lo, s14, v0
	v_add_co_ci_u32_e64 v1, null, s15, v1, vcc_lo
	global_load_dword v3, v[0:1], off
.LBB35_41:                              ; =>This Inner Loop Header: Depth=1
	s_waitcnt vmcnt(0)
	v_pk_add_f16 v2, v22, v3
	global_atomic_cmpswap v2, v[0:1], v[2:3], off glc
	s_waitcnt vmcnt(0)
	v_cmp_eq_u32_e32 vcc_lo, v3, v2
	v_mov_b32_e32 v3, v2
	s_or_b32 s0, vcc_lo, s0
	s_andn2_b32 exec_lo, exec_lo, s0
	s_cbranch_execnz .LBB35_41
; %bb.42:
	s_or_b32 exec_lo, exec_lo, s0
	global_load_dword v3, v[0:1], off offset:4
	s_mov_b32 s0, 0
.LBB35_43:                              ; =>This Inner Loop Header: Depth=1
	s_waitcnt vmcnt(0)
	v_pk_add_f16 v2, v21, v3
	global_atomic_cmpswap v2, v[0:1], v[2:3], off offset:4 glc
	s_waitcnt vmcnt(0)
	v_cmp_eq_u32_e32 vcc_lo, v3, v2
	v_mov_b32_e32 v3, v2
	s_or_b32 s0, vcc_lo, s0
	s_andn2_b32 exec_lo, exec_lo, s0
	s_cbranch_execnz .LBB35_43
.LBB35_44:
	s_endpgm
	.section	.rodata,"a",@progbits
	.p2align	6, 0x0
	.amdhsa_kernel _ZN4vllm4gptq33gemm_half_q_half_gptq_2bit_kernelILb1ELi6EEEvPK6__halfPKjS6_S4_PS2_iiiibPKi
		.amdhsa_group_segment_fixed_size 1536
		.amdhsa_private_segment_fixed_size 0
		.amdhsa_kernarg_size 72
		.amdhsa_user_sgpr_count 6
		.amdhsa_user_sgpr_private_segment_buffer 1
		.amdhsa_user_sgpr_dispatch_ptr 0
		.amdhsa_user_sgpr_queue_ptr 0
		.amdhsa_user_sgpr_kernarg_segment_ptr 1
		.amdhsa_user_sgpr_dispatch_id 0
		.amdhsa_user_sgpr_flat_scratch_init 0
		.amdhsa_user_sgpr_private_segment_size 0
		.amdhsa_wavefront_size32 1
		.amdhsa_uses_dynamic_stack 0
		.amdhsa_system_sgpr_private_segment_wavefront_offset 0
		.amdhsa_system_sgpr_workgroup_id_x 1
		.amdhsa_system_sgpr_workgroup_id_y 1
		.amdhsa_system_sgpr_workgroup_id_z 1
		.amdhsa_system_sgpr_workgroup_info 0
		.amdhsa_system_vgpr_workitem_id 0
		.amdhsa_next_free_vgpr 89
		.amdhsa_next_free_sgpr 24
		.amdhsa_reserve_vcc 1
		.amdhsa_reserve_flat_scratch 0
		.amdhsa_float_round_mode_32 0
		.amdhsa_float_round_mode_16_64 0
		.amdhsa_float_denorm_mode_32 3
		.amdhsa_float_denorm_mode_16_64 3
		.amdhsa_dx10_clamp 1
		.amdhsa_ieee_mode 1
		.amdhsa_fp16_overflow 0
		.amdhsa_workgroup_processor_mode 1
		.amdhsa_memory_ordered 1
		.amdhsa_forward_progress 1
		.amdhsa_shared_vgpr_count 0
		.amdhsa_exception_fp_ieee_invalid_op 0
		.amdhsa_exception_fp_denorm_src 0
		.amdhsa_exception_fp_ieee_div_zero 0
		.amdhsa_exception_fp_ieee_overflow 0
		.amdhsa_exception_fp_ieee_underflow 0
		.amdhsa_exception_fp_ieee_inexact 0
		.amdhsa_exception_int_div_zero 0
	.end_amdhsa_kernel
	.section	.text._ZN4vllm4gptq33gemm_half_q_half_gptq_2bit_kernelILb1ELi6EEEvPK6__halfPKjS6_S4_PS2_iiiibPKi,"axG",@progbits,_ZN4vllm4gptq33gemm_half_q_half_gptq_2bit_kernelILb1ELi6EEEvPK6__halfPKjS6_S4_PS2_iiiibPKi,comdat
.Lfunc_end35:
	.size	_ZN4vllm4gptq33gemm_half_q_half_gptq_2bit_kernelILb1ELi6EEEvPK6__halfPKjS6_S4_PS2_iiiibPKi, .Lfunc_end35-_ZN4vllm4gptq33gemm_half_q_half_gptq_2bit_kernelILb1ELi6EEEvPK6__halfPKjS6_S4_PS2_iiiibPKi
                                        ; -- End function
	.set _ZN4vllm4gptq33gemm_half_q_half_gptq_2bit_kernelILb1ELi6EEEvPK6__halfPKjS6_S4_PS2_iiiibPKi.num_vgpr, 89
	.set _ZN4vllm4gptq33gemm_half_q_half_gptq_2bit_kernelILb1ELi6EEEvPK6__halfPKjS6_S4_PS2_iiiibPKi.num_agpr, 0
	.set _ZN4vllm4gptq33gemm_half_q_half_gptq_2bit_kernelILb1ELi6EEEvPK6__halfPKjS6_S4_PS2_iiiibPKi.numbered_sgpr, 24
	.set _ZN4vllm4gptq33gemm_half_q_half_gptq_2bit_kernelILb1ELi6EEEvPK6__halfPKjS6_S4_PS2_iiiibPKi.num_named_barrier, 0
	.set _ZN4vllm4gptq33gemm_half_q_half_gptq_2bit_kernelILb1ELi6EEEvPK6__halfPKjS6_S4_PS2_iiiibPKi.private_seg_size, 0
	.set _ZN4vllm4gptq33gemm_half_q_half_gptq_2bit_kernelILb1ELi6EEEvPK6__halfPKjS6_S4_PS2_iiiibPKi.uses_vcc, 1
	.set _ZN4vllm4gptq33gemm_half_q_half_gptq_2bit_kernelILb1ELi6EEEvPK6__halfPKjS6_S4_PS2_iiiibPKi.uses_flat_scratch, 0
	.set _ZN4vllm4gptq33gemm_half_q_half_gptq_2bit_kernelILb1ELi6EEEvPK6__halfPKjS6_S4_PS2_iiiibPKi.has_dyn_sized_stack, 0
	.set _ZN4vllm4gptq33gemm_half_q_half_gptq_2bit_kernelILb1ELi6EEEvPK6__halfPKjS6_S4_PS2_iiiibPKi.has_recursion, 0
	.set _ZN4vllm4gptq33gemm_half_q_half_gptq_2bit_kernelILb1ELi6EEEvPK6__halfPKjS6_S4_PS2_iiiibPKi.has_indirect_call, 0
	.section	.AMDGPU.csdata,"",@progbits
; Kernel info:
; codeLenInByte = 5928
; TotalNumSgprs: 26
; NumVgprs: 89
; ScratchSize: 0
; MemoryBound: 0
; FloatMode: 240
; IeeeMode: 1
; LDSByteSize: 1536 bytes/workgroup (compile time only)
; SGPRBlocks: 0
; VGPRBlocks: 11
; NumSGPRsForWavesPerEU: 26
; NumVGPRsForWavesPerEU: 89
; Occupancy: 10
; WaveLimiterHint : 0
; COMPUTE_PGM_RSRC2:SCRATCH_EN: 0
; COMPUTE_PGM_RSRC2:USER_SGPR: 6
; COMPUTE_PGM_RSRC2:TRAP_HANDLER: 0
; COMPUTE_PGM_RSRC2:TGID_X_EN: 1
; COMPUTE_PGM_RSRC2:TGID_Y_EN: 1
; COMPUTE_PGM_RSRC2:TGID_Z_EN: 1
; COMPUTE_PGM_RSRC2:TIDIG_COMP_CNT: 0
	.section	.text._ZN4vllm4gptq33gemm_half_q_half_gptq_3bit_kernelILb1ELi6EEEvPK6__halfPKjS6_S4_PS2_iiiibPKi,"axG",@progbits,_ZN4vllm4gptq33gemm_half_q_half_gptq_3bit_kernelILb1ELi6EEEvPK6__halfPKjS6_S4_PS2_iiiibPKi,comdat
	.protected	_ZN4vllm4gptq33gemm_half_q_half_gptq_3bit_kernelILb1ELi6EEEvPK6__halfPKjS6_S4_PS2_iiiibPKi ; -- Begin function _ZN4vllm4gptq33gemm_half_q_half_gptq_3bit_kernelILb1ELi6EEEvPK6__halfPKjS6_S4_PS2_iiiibPKi
	.globl	_ZN4vllm4gptq33gemm_half_q_half_gptq_3bit_kernelILb1ELi6EEEvPK6__halfPKjS6_S4_PS2_iiiibPKi
	.p2align	8
	.type	_ZN4vllm4gptq33gemm_half_q_half_gptq_3bit_kernelILb1ELi6EEEvPK6__halfPKjS6_S4_PS2_iiiibPKi,@function
_ZN4vllm4gptq33gemm_half_q_half_gptq_3bit_kernelILb1ELi6EEEvPK6__halfPKjS6_S4_PS2_iiiibPKi: ; @_ZN4vllm4gptq33gemm_half_q_half_gptq_3bit_kernelILb1ELi6EEEvPK6__halfPKjS6_S4_PS2_iiiibPKi
; %bb.0:
	s_load_dwordx4 s[16:19], s[4:5], 0x2c
	s_lshl_b32 s20, s8, 7
	s_load_dwordx8 s[8:15], s[4:5], 0x8
	s_add_i32 s0, s20, 0x80
	s_mul_i32 s7, s7, 6
	v_cvt_f64_u32_e32 v[1:2], s0
	s_mov_b32 s22, exec_lo
	s_waitcnt lgkmcnt(0)
	v_cvt_f64_i32_e32 v[3:4], s17
	v_min_f64 v[1:2], v[1:2], v[3:4]
	v_cvt_i32_f64_e32 v2, v[1:2]
	v_add_nc_u32_e32 v1, s20, v0
	v_readfirstlane_b32 s21, v2
	v_cmpx_lt_u32_e64 v1, v2
	s_cbranch_execz .LBB36_14
; %bb.1:
	s_clause 0x1
	s_load_dwordx2 s[2:3], s[4:5], 0x40
	s_load_dwordx2 s[0:1], s[4:5], 0x0
	v_mov_b32_e32 v2, 0
	v_lshlrev_b64 v[3:4], 2, v[1:2]
	v_mov_b32_e32 v6, v2
	v_mov_b32_e32 v5, v1
	s_waitcnt lgkmcnt(0)
	v_add_co_u32 v3, vcc_lo, s2, v3
	v_add_co_ci_u32_e64 v4, null, s3, v4, vcc_lo
	s_cmp_lg_u64 s[2:3], 0
	s_cselect_b32 s4, -1, 0
	s_cmp_eq_u64 s[2:3], 0
	s_cbranch_scc1 .LBB36_3
; %bb.2:
	global_load_dword v5, v[3:4], off
	s_waitcnt vmcnt(0)
	v_ashrrev_i32_e32 v6, 31, v5
.LBB36_3:
	s_mul_i32 s2, s7, s17
	v_lshlrev_b64 v[5:6], 1, v[5:6]
	s_ashr_i32 s3, s2, 31
	v_cndmask_b32_e64 v8, 0, 1, s4
	s_lshl_b64 s[24:25], s[2:3], 1
	v_lshlrev_b32_e32 v7, 1, v0
	s_add_u32 s3, s0, s24
	s_addc_u32 s5, s1, s25
	v_add_co_u32 v5, vcc_lo, s3, v5
	v_add_co_ci_u32_e64 v6, null, s5, v6, vcc_lo
	s_andn2_b32 vcc_lo, exec_lo, s4
	global_load_ushort v9, v[5:6], off
	v_mov_b32_e32 v6, v2
	v_mov_b32_e32 v5, v1
	s_waitcnt vmcnt(0)
	ds_write_b16 v7, v9
	s_cbranch_vccnz .LBB36_5
; %bb.4:
	global_load_dword v5, v[3:4], off
	s_waitcnt vmcnt(0)
	v_ashrrev_i32_e32 v6, 31, v5
.LBB36_5:
	s_add_i32 s2, s2, s17
	v_lshlrev_b64 v[5:6], 1, v[5:6]
	s_ashr_i32 s3, s2, 31
	s_lshl_b64 s[4:5], s[2:3], 1
	s_add_u32 s3, s0, s4
	s_addc_u32 s4, s1, s5
	v_add_co_u32 v5, vcc_lo, s3, v5
	v_add_co_ci_u32_e64 v6, null, s4, v6, vcc_lo
	v_cmp_ne_u32_e32 vcc_lo, 1, v8
	global_load_ushort v9, v[5:6], off
	v_mov_b32_e32 v6, v2
	v_mov_b32_e32 v5, v1
	s_waitcnt vmcnt(0)
	ds_write_b16 v7, v9 offset:256
	s_cbranch_vccnz .LBB36_7
; %bb.6:
	global_load_dword v5, v[3:4], off
	s_waitcnt vmcnt(0)
	v_ashrrev_i32_e32 v6, 31, v5
.LBB36_7:
	s_add_i32 s2, s2, s17
	v_lshlrev_b64 v[5:6], 1, v[5:6]
	s_ashr_i32 s3, s2, 31
	s_lshl_b64 s[4:5], s[2:3], 1
	s_add_u32 s3, s0, s4
	s_addc_u32 s4, s1, s5
	v_add_co_u32 v5, vcc_lo, s3, v5
	v_add_co_ci_u32_e64 v6, null, s4, v6, vcc_lo
	v_cmp_ne_u32_e32 vcc_lo, 1, v8
	global_load_ushort v9, v[5:6], off
	v_mov_b32_e32 v6, v2
	v_mov_b32_e32 v5, v1
	s_waitcnt vmcnt(0)
	ds_write_b16 v7, v9 offset:512
	;; [unrolled: 20-line block ×3, first 2 shown]
	s_cbranch_vccnz .LBB36_11
; %bb.10:
	global_load_dword v5, v[3:4], off
	s_waitcnt vmcnt(0)
	v_ashrrev_i32_e32 v6, 31, v5
.LBB36_11:
	s_add_i32 s2, s2, s17
	v_lshlrev_b64 v[5:6], 1, v[5:6]
	s_ashr_i32 s3, s2, 31
	s_lshl_b64 s[4:5], s[2:3], 1
	s_add_u32 s3, s0, s4
	s_addc_u32 s4, s1, s5
	v_add_co_u32 v5, vcc_lo, s3, v5
	v_add_co_ci_u32_e64 v6, null, s4, v6, vcc_lo
	v_cmp_ne_u32_e32 vcc_lo, 1, v8
	global_load_ushort v5, v[5:6], off
	s_waitcnt vmcnt(0)
	ds_write_b16 v7, v5 offset:1024
	s_cbranch_vccnz .LBB36_13
; %bb.12:
	global_load_dword v1, v[3:4], off
	s_waitcnt vmcnt(0)
	v_ashrrev_i32_e32 v2, 31, v1
.LBB36_13:
	s_add_i32 s2, s2, s17
	v_lshlrev_b64 v[1:2], 1, v[1:2]
	s_ashr_i32 s3, s2, 31
	s_lshl_b64 s[2:3], s[2:3], 1
	s_add_u32 s0, s0, s2
	s_addc_u32 s1, s1, s3
	v_add_co_u32 v1, vcc_lo, s0, v1
	v_add_co_ci_u32_e64 v2, null, s1, v2, vcc_lo
	global_load_ushort v1, v[1:2], off
	s_waitcnt vmcnt(0)
	ds_write_b16 v7, v1 offset:1280
.LBB36_14:
	s_or_b32 exec_lo, exec_lo, s22
	v_lshlrev_b32_e32 v0, 2, v0
	s_mov_b32 s0, exec_lo
	v_lshl_add_u32 v4, s6, 9, v0
	v_cmpx_gt_i32_e64 s16, v4
	s_cbranch_execz .LBB36_76
; %bb.15:
	s_abs_i32 s0, s18
	s_abs_i32 s3, s17
	v_cvt_f32_u32_e32 v1, s0
	s_sub_i32 s2, 0, s0
	v_and_b32_e32 v2, 28, v0
	s_waitcnt lgkmcnt(0)
	s_barrier
	v_rcp_iflag_f32_e32 v1, v1
	buffer_gl0_inv
	v_cmp_lt_u32_e32 vcc_lo, 4, v2
                                        ; implicit-def: $vgpr3
                                        ; implicit-def: $vgpr0
	v_mul_f32_e32 v1, 0x4f7ffffe, v1
	v_cvt_u32_f32_e32 v1, v1
	v_readfirstlane_b32 s1, v1
	s_mul_i32 s2, s2, s1
	s_mul_hi_u32 s2, s1, s2
	s_add_i32 s1, s1, s2
	s_xor_b32 s2, s17, s18
	s_mul_hi_u32 s1, s3, s1
	s_ashr_i32 s2, s2, 31
	s_mul_i32 s4, s1, s0
	s_sub_i32 s3, s3, s4
	s_add_i32 s4, s1, 1
	s_sub_i32 s5, s3, s0
	s_cmp_ge_u32 s3, s0
	s_cselect_b32 s1, s4, s1
	s_cselect_b32 s3, s5, s3
	s_add_i32 s4, s1, 1
	s_cmp_ge_u32 s3, s0
	s_cselect_b32 s0, s4, s1
	s_xor_b32 s0, s0, s2
	s_sub_i32 s6, s0, s2
	v_cvt_f32_u32_e32 v1, s6
	s_sub_i32 s1, 0, s6
	v_rcp_iflag_f32_e32 v1, v1
	v_mul_f32_e32 v1, 0x4f7ffffe, v1
	v_cvt_u32_f32_e32 v1, v1
	v_readfirstlane_b32 s0, v1
	s_mul_i32 s1, s1, s0
	s_mul_hi_u32 s1, s0, s1
	s_add_i32 s0, s0, s1
	s_mul_hi_u32 s0, s20, s0
	s_mul_i32 s1, s0, s6
	s_add_i32 s2, s0, 1
	s_sub_i32 s1, s20, s1
	s_sub_i32 s3, s1, s6
	s_cmp_ge_u32 s1, s6
	s_cselect_b32 s0, s2, s0
	s_cselect_b32 s1, s3, s1
	s_add_i32 s2, s0, 1
	s_cmp_ge_u32 s1, s6
	s_cselect_b32 s18, s2, s0
	s_and_saveexec_b32 s0, vcc_lo
	s_xor_b32 s1, exec_lo, s0
	s_cbranch_execz .LBB36_29
; %bb.16:
	s_mov_b32 s2, exec_lo
                                        ; implicit-def: $vgpr3
                                        ; implicit-def: $vgpr0
	v_cmpx_ne_u32_e32 8, v2
	s_xor_b32 s2, exec_lo, s2
	s_cbranch_execz .LBB36_26
; %bb.17:
	s_mov_b32 s3, exec_lo
                                        ; implicit-def: $vgpr3
                                        ; implicit-def: $vgpr0
	v_cmpx_lt_u32_e32 16, v2
	s_xor_b32 s3, exec_lo, s3
	s_cbranch_execz .LBB36_23
; %bb.18:
	v_lshl_add_u32 v0, v4, 1, v4
	s_mul_i32 s4, s18, s16
                                        ; implicit-def: $vgpr3
	s_ashr_i32 s0, s4, 31
	s_lshr_b32 s0, s0, 27
	v_ashrrev_i32_e32 v1, 31, v0
	s_add_i32 s0, s4, s0
	s_ashr_i32 s0, s0, 5
	v_lshrrev_b32_e32 v1, 27, v1
	v_add_nc_u32_e32 v0, v0, v1
	v_ashrrev_i32_e32 v0, 5, v0
	v_mad_u64_u32 v[0:1], null, s0, 3, v[0:1]
	v_ashrrev_i32_e32 v1, 31, v0
	v_lshlrev_b64 v[0:1], 2, v[0:1]
	v_add_co_u32 v0, s0, s10, v0
	v_add_co_ci_u32_e64 v1, null, s11, v1, s0
	v_cmp_ne_u32_e64 s0, 20, v2
	global_load_dword v5, v[0:1], off
	s_and_saveexec_b32 s5, s0
	s_xor_b32 s0, exec_lo, s5
	s_cbranch_execz .LBB36_20
; %bb.19:
	v_mad_u32_u24 v0, v2, 3, 0xffffffc0
	s_waitcnt vmcnt(0)
	v_lshrrev_b32_e32 v3, v0, v5
                                        ; implicit-def: $vgpr0_vgpr1
                                        ; implicit-def: $vgpr5
.LBB36_20:
	s_andn2_saveexec_b32 s0, s0
	s_cbranch_execz .LBB36_22
; %bb.21:
	global_load_dword v0, v[0:1], off offset:4
	s_waitcnt vmcnt(0)
	v_alignbit_b32 v0, v0, v5, 28
	v_and_b32_e32 v3, 0xfff, v0
.LBB36_22:
	s_or_b32 exec_lo, exec_lo, s0
	v_mov_b32_e32 v0, s4
.LBB36_23:
	s_andn2_saveexec_b32 s3, s3
	s_cbranch_execz .LBB36_25
; %bb.24:
	v_lshl_add_u32 v0, v4, 1, v4
	s_mul_i32 s4, s18, s16
	s_ashr_i32 s0, s4, 31
	s_lshr_b32 s0, s0, 27
	v_ashrrev_i32_e32 v1, 31, v0
	s_add_i32 s0, s4, s0
	s_ashr_i32 s0, s0, 5
	v_lshrrev_b32_e32 v1, 27, v1
	v_add_nc_u32_e32 v0, v0, v1
	v_ashrrev_i32_e32 v0, 5, v0
	v_mad_u64_u32 v[0:1], null, s0, 3, v[0:1]
	v_ashrrev_i32_e32 v1, 31, v0
	v_lshlrev_b64 v[0:1], 2, v[0:1]
	v_add_co_u32 v0, s0, s10, v0
	v_add_co_ci_u32_e64 v1, null, s11, v1, s0
	global_load_dword v0, v[0:1], off
	v_mad_u32_u24 v1, v2, 3, 0xffffffe0
	s_waitcnt vmcnt(0)
	v_lshrrev_b32_e32 v3, v1, v0
	v_mov_b32_e32 v0, s4
.LBB36_25:
	s_or_b32 exec_lo, exec_lo, s3
.LBB36_26:
	s_andn2_saveexec_b32 s2, s2
	s_cbranch_execz .LBB36_28
; %bb.27:
	v_lshl_add_u32 v0, v4, 1, v4
	s_mul_i32 s3, s18, s16
	s_ashr_i32 s0, s3, 31
	s_lshr_b32 s0, s0, 27
	v_ashrrev_i32_e32 v1, 31, v0
	s_add_i32 s0, s3, s0
	s_ashr_i32 s0, s0, 5
	v_lshrrev_b32_e32 v1, 27, v1
	v_add_nc_u32_e32 v0, v0, v1
	v_ashrrev_i32_e32 v0, 5, v0
	v_mad_u64_u32 v[0:1], null, s0, 3, v[0:1]
	v_ashrrev_i32_e32 v1, 31, v0
	v_lshlrev_b64 v[0:1], 2, v[0:1]
	v_add_co_u32 v0, s0, s10, v0
	v_add_co_ci_u32_e64 v1, null, s11, v1, s0
	global_load_dwordx2 v[0:1], v[0:1], off
	s_waitcnt vmcnt(0)
	v_perm_b32 v0, v0, v1, 0x2010007
	v_and_b32_e32 v3, 0xfff, v0
	v_mov_b32_e32 v0, s3
.LBB36_28:
	s_or_b32 exec_lo, exec_lo, s2
.LBB36_29:
	s_or_saveexec_b32 s1, s1
	v_lshl_add_u32 v1, v4, 1, v4
	v_mul_u32_u24_e32 v18, 3, v2
	v_ashrrev_i32_e32 v6, 31, v1
	s_xor_b32 exec_lo, exec_lo, s1
	s_cbranch_execz .LBB36_31
; %bb.30:
	v_lshrrev_b32_e32 v0, 27, v6
	s_mul_i32 s2, s18, s16
	s_ashr_i32 s0, s2, 31
	s_lshr_b32 s0, s0, 27
	v_add_nc_u32_e32 v0, v1, v0
	s_add_i32 s0, s2, s0
	s_ashr_i32 s0, s0, 5
	v_ashrrev_i32_e32 v0, 5, v0
	v_mad_u64_u32 v[7:8], null, s0, 3, v[0:1]
	v_ashrrev_i32_e32 v8, 31, v7
	v_lshlrev_b64 v[7:8], 2, v[7:8]
	v_add_co_u32 v7, s0, s10, v7
	v_add_co_ci_u32_e64 v8, null, s11, v8, s0
	global_load_dword v0, v[7:8], off
	s_waitcnt vmcnt(0)
	v_lshrrev_b32_e32 v3, v18, v0
	v_mov_b32_e32 v0, s2
.LBB36_31:
	s_or_b32 exec_lo, exec_lo, s1
	v_mov_b32_e32 v22, 0
	v_mov_b32_e32 v21, 0
	;; [unrolled: 1-line block ×11, first 2 shown]
	s_waitcnt vmcnt(0)
	v_mov_b32_e32 v5, 0
	s_cmp_ge_i32 s20, s21
	s_mov_b32 s22, 0
	s_cbranch_scc1 .LBB36_52
; %bb.32:
	v_add_nc_u32_e32 v7, v0, v4
	v_lshrrev_b32_e32 v0, 27, v6
	v_ashrrev_i32_e32 v5, 31, v4
	s_add_i32 s23, s6, s20
	v_bfe_u32 v27, v3, 9, 3
	v_ashrrev_i32_e32 v8, 31, v7
	v_add_nc_u32_e32 v0, v1, v0
	v_bfe_u32 v28, v3, 6, 3
	v_bfe_u32 v29, v3, 3, 3
	v_and_b32_e32 v30, 7, v3
	v_lshlrev_b64 v[7:8], 1, v[7:8]
	v_ashrrev_i32_e32 v6, 5, v0
	v_lshlrev_b64 v[0:1], 2, v[4:5]
	v_cmp_lt_u32_e64 s1, 16, v2
	v_cmp_ne_u32_e64 s2, 20, v2
	v_mad_u32_u24 v24, v2, 3, 0xffffffc0
	v_add_co_u32 v7, s0, s12, v7
	v_add_co_ci_u32_e64 v8, null, s13, v8, s0
	s_lshr_b32 s0, s20, 5
	v_mad_u32_u24 v25, v2, 3, 0xffffffe0
	s_mul_i32 s0, s0, s16
	global_load_dwordx2 v[9:10], v[7:8], off
	s_mul_i32 s4, s0, 3
	v_mov_b32_e32 v5, 0
	s_ashr_i32 s5, s4, 31
	s_bitcmp1_b32 s19, 0
	v_mov_b32_e32 v26, 0x10001
	s_cselect_b32 s0, -1, 0
	s_lshl_b64 s[4:5], s[4:5], 2
	s_xor_b32 s0, s0, -1
	s_ashr_i32 s17, s16, 31
	s_add_u32 s3, s8, s4
	s_addc_u32 s4, s9, s5
	v_add_co_u32 v7, s3, s3, v0
	v_cndmask_b32_e64 v23, 0, 1, s0
	v_cmp_ne_u32_e64 s0, 8, v2
	v_add_co_ci_u32_e64 v8, null, s4, v1, s3
	v_mov_b32_e32 v11, 0
	v_mov_b32_e32 v12, 0
	;; [unrolled: 1-line block ×11, first 2 shown]
	s_mul_hi_i32 s8, s16, 12
	s_mul_i32 s9, s16, 12
	s_lshl_b64 s[4:5], s[16:17], 2
	s_mov_b32 s17, 0x10001
	s_mov_b32 s19, 0x70007
	s_mov_b32 s24, 0x380038
	s_mov_b32 s25, 0x1c001c0
	s_branch .LBB36_35
.LBB36_33:                              ;   in Loop: Header=BB36_35 Depth=1
	s_or_b32 exec_lo, exec_lo, s3
	v_add_nc_u32_e32 v0, s26, v4
	v_and_b32_e32 v30, 7, v2
	v_bfe_u32 v29, v2, 3, 3
	v_bfe_u32 v28, v2, 6, 3
	;; [unrolled: 1-line block ×3, first 2 shown]
	v_ashrrev_i32_e32 v1, 31, v0
	s_add_i32 s23, s23, s6
	v_lshlrev_b64 v[0:1], 1, v[0:1]
	v_add_co_u32 v0, s3, s12, v0
	v_add_co_ci_u32_e64 v1, null, s13, v1, s3
	global_load_dwordx2 v[9:10], v[0:1], off
.LBB36_34:                              ;   in Loop: Header=BB36_35 Depth=1
	v_add_co_u32 v41, s3, v7, s4
	v_add_co_ci_u32_e64 v42, null, s5, v8, s3
	global_load_dwordx4 v[0:3], v[7:8], off
	s_add_i32 s20, s20, 32
	global_load_dwordx4 v[37:40], v[41:42], off
	s_waitcnt vmcnt(1)
	v_and_or_b32 v81, v1, s19, 0x64006400
	v_and_or_b32 v82, v1, s24, 0x64006400
	v_lshrrev_b32_e32 v72, 6, v1
	v_lshrrev_b32_e32 v32, 15, v1
	s_waitcnt vmcnt(0)
	v_and_or_b32 v77, v38, s19, 0x64006400
	v_and_or_b32 v1, v38, s24, 0x64006400
	v_lshrrev_b32_e32 v59, 6, v38
	v_lshrrev_b32_e32 v36, 14, v38
	v_add_co_u32 v38, s3, v41, s4
	v_and_or_b32 v78, v39, s19, 0x64006400
	v_and_or_b32 v67, v39, s24, 0x64006400
	v_lshrrev_b32_e32 v62, 6, v39
	v_lshrrev_b32_e32 v34, 14, v39
	v_add_co_ci_u32_e64 v39, null, s5, v42, s3
	v_and_or_b32 v79, v40, s19, 0x64006400
	v_and_or_b32 v68, v40, s24, 0x64006400
	v_lshrrev_b32_e32 v63, 6, v40
	global_load_dwordx4 v[43:46], v[38:39], off
	v_lshrrev_b32_e32 v33, 14, v40
	v_and_or_b32 v35, v0, s19, 0x64006400
	v_and_or_b32 v83, v2, s19, 0x64006400
	;; [unrolled: 1-line block ×6, first 2 shown]
	s_add_i32 s3, s22, 0x400
	v_lshrrev_b32_e32 v66, 6, v0
	v_lshrrev_b32_e32 v74, 6, v2
	;; [unrolled: 1-line block ×3, first 2 shown]
	v_and_or_b32 v76, v37, s19, 0x64006400
	v_lshrrev_b32_e32 v31, 15, v0
	v_and_or_b32 v0, v37, s24, 0x64006400
	v_lshrrev_b32_e32 v58, 6, v37
	v_lshrrev_b32_e32 v2, 15, v2
	v_and_b32_e32 v36, 0x20002, v36
	v_and_b32_e32 v34, 0x20002, v34
	v_lshrrev_b32_e32 v37, 14, v37
	v_lshrrev_b32_e32 v3, 15, v3
	v_and_b32_e32 v33, 0x20002, v33
	v_and_or_b32 v32, 0x10001, v32, v36
	v_and_or_b32 v2, 0x10001, v2, v34
	v_and_b32_e32 v37, 0x20002, v37
	v_and_or_b32 v3, 0x10001, v3, v33
	v_and_or_b32 v31, 0x10001, v31, v37
	s_waitcnt vmcnt(0)
	v_and_or_b32 v56, v44, s19, 0x64006400
	v_and_or_b32 v57, v44, s24, 0x64006400
	v_lshrrev_b32_e32 v39, 6, v44
	v_lshrrev_b32_e32 v42, 13, v44
	v_and_or_b32 v60, v45, s19, 0x64006400
	v_and_or_b32 v61, v45, s24, 0x64006400
	v_lshrrev_b32_e32 v38, 6, v45
	v_lshrrev_b32_e32 v40, 13, v45
	;; [unrolled: 4-line block ×3, first 2 shown]
	v_add_nc_u32_e32 v46, v30, v23
	v_and_or_b32 v54, v43, s19, 0x64006400
	v_and_or_b32 v55, v43, s24, 0x64006400
	v_lshrrev_b32_e32 v41, 6, v43
	v_and_b32_e32 v36, 0x40004, v42
	v_cvt_f32_u32_e32 v50, v46
	v_mad_u32_u24 v49, v46, s17, 0xe400e400
	v_add_nc_u32_e32 v46, v29, v23
	v_and_b32_e32 v34, 0x40004, v40
	v_lshrrev_b32_e32 v43, 13, v43
	v_cvt_f16_f32_e32 v69, v50
	v_pk_add_f16 v91, v49, v35
	v_cvt_f32_u32_e32 v51, v46
	v_mad_u32_u24 v48, v46, s17, 0xe400e400
	v_add_nc_u32_e32 v46, v28, v23
	v_mov_b32_e32 v35, s22
	v_pk_add_f16 v76, v49, v76
	v_cvt_f16_f32_e32 v70, v51
	v_pk_add_f16 v105, v48, v81
	v_cvt_f32_u32_e32 v52, v46
	v_mad_u32_u24 v47, v46, s17, 0xe400e400
	v_add_nc_u32_e32 v46, v27, v23
	v_sub_f16_e32 v51, 0xd800, v70
	ds_read2_b32 v[112:113], v35 offset0:2 offset1:3
	v_cvt_f16_f32_e32 v71, v52
	v_pk_add_f16 v107, v47, v83
	v_cvt_f32_u32_e32 v50, v46
	v_mul_u32_u24_sdwa v51, v51, v26 dst_sel:DWORD dst_unused:UNUSED_PAD src0_sel:WORD_0 src1_sel:DWORD
	v_mad_u32_u24 v46, v46, s17, 0xe400e400
	v_sub_f16_e32 v52, 0xd800, v71
	v_sub_f16_e32 v70, 0xcc00, v70
	v_cvt_f16_f32_e32 v73, v50
	v_pk_fma_f16 v106, 0x3000, v82, v51 op_sel_hi:[0,1,1]
	ds_read2_b32 v[81:82], v35 offset1:1
	v_sub_f16_e32 v50, 0xd800, v69
	v_mul_u32_u24_sdwa v52, v52, v26 dst_sel:DWORD dst_unused:UNUSED_PAD src0_sel:WORD_0 src1_sel:DWORD
	v_sub_f16_e32 v53, 0xd800, v73
	v_pk_add_f16 v109, v46, v85
	v_sub_f16_e32 v69, 0xcc00, v69
	v_mul_u32_u24_sdwa v50, v50, v26 dst_sel:DWORD dst_unused:UNUSED_PAD src0_sel:WORD_0 src1_sel:DWORD
	v_pk_fma_f16 v108, 0x3000, v84, v52 op_sel_hi:[0,1,1]
	v_mul_u32_u24_sdwa v53, v53, v26 dst_sel:DWORD dst_unused:UNUSED_PAD src0_sel:WORD_0 src1_sel:DWORD
	v_pk_add_f16 v77, v48, v77
	v_pk_add_f16 v78, v47, v78
	v_pk_fma_f16 v97, 0x3000, v80, v50 op_sel_hi:[0,1,1]
	v_pk_add_f16 v79, v46, v79
	v_pk_fma_f16 v110, 0x3000, v86, v53 op_sel_hi:[0,1,1]
	v_or3_b32 v32, v32, v36, 0x64006400
	v_and_or_b32 v36, v39, s25, 0x64006400
	v_or3_b32 v2, v2, v34, 0x64006400
	v_and_or_b32 v34, v38, s25, 0x64006400
	v_and_b32_e32 v37, 0x40004, v43
	v_pk_add_f16 v32, v48, v32
	s_waitcnt lgkmcnt(0)
	v_pk_fma_f16 v83, v105, v81, 0
	v_pk_fma_f16 v80, v91, v81, 0
	v_and_b32_e32 v33, 0x40004, v45
	v_or3_b32 v31, v31, v37, 0x64006400
	v_and_or_b32 v37, v41, s25, 0x64006400
	v_pk_fma_f16 v86, v106, v82, v83
	v_pk_fma_f16 v83, v107, v81, 0
	;; [unrolled: 1-line block ×4, first 2 shown]
	v_pk_add_f16 v31, v49, v31
	v_or3_b32 v3, v3, v33, 0x64006400
	v_pk_fma_f16 v92, v108, v82, v83
	v_pk_fma_f16 v98, v110, v82, v81
	ds_read2_b32 v[82:83], v35 offset0:64 offset1:65
	v_and_or_b32 v33, v44, s25, 0x64006400
	v_pk_add_f16 v2, v47, v2
	v_pk_add_f16 v3, v46, v3
	s_waitcnt lgkmcnt(0)
	v_pk_fma_f16 v84, v105, v82, 0
	v_pk_fma_f16 v81, v91, v82, 0
	;; [unrolled: 1-line block ×8, first 2 shown]
	ds_read2_b32 v[83:84], v35 offset0:128 offset1:129
	s_waitcnt lgkmcnt(0)
	v_pk_fma_f16 v85, v105, v83, 0
	v_pk_fma_f16 v82, v91, v83, 0
	;; [unrolled: 1-line block ×8, first 2 shown]
	ds_read2_b32 v[84:85], v35 offset0:192 offset1:193
	s_waitcnt lgkmcnt(0)
	v_pk_fma_f16 v83, v91, v84, 0
	v_pk_fma_f16 v89, v105, v84, 0
	;; [unrolled: 1-line block ×8, first 2 shown]
	v_mov_b32_e32 v84, s3
	s_add_i32 s3, s22, 0x500
	ds_read2_b32 v[102:103], v84 offset1:1
	s_waitcnt lgkmcnt(0)
	v_pk_fma_f16 v85, v105, v102, 0
	v_pk_fma_f16 v84, v91, v102, 0
	;; [unrolled: 1-line block ×8, first 2 shown]
	v_mov_b32_e32 v85, s3
	s_add_i32 s3, s22, 0x408
	ds_read2_b32 v[103:104], v85 offset1:1
	s_waitcnt lgkmcnt(0)
	v_pk_fma_f16 v85, v91, v103, 0
	v_pk_fma_f16 v91, v105, v103, 0
	v_pk_fma_f16 v85, v97, v104, v85
	v_pk_fma_f16 v97, v107, v103, 0
	v_pk_fma_f16 v103, v109, v103, 0
	v_pk_fma_f16 v91, v106, v104, v91
	v_and_or_b32 v106, v72, s19, 0x64006400
	v_pk_fma_f16 v97, v108, v104, v97
	v_pk_fma_f16 v103, v110, v104, v103
	v_and_or_b32 v104, v66, s19, 0x64006400
	v_and_or_b32 v108, v74, s19, 0x64006400
	;; [unrolled: 1-line block ×3, first 2 shown]
	v_pk_add_f16 v107, v48, v106
	v_and_or_b32 v106, v72, s24, 0x64006400
	v_pk_add_f16 v105, v49, v104
	v_and_or_b32 v104, v66, s24, 0x64006400
	;; [unrolled: 2-line block ×4, first 2 shown]
	v_pk_fma_f16 v104, 0x3000, v104, v50 op_sel_hi:[0,1,1]
	v_pk_fma_f16 v106, 0x3000, v106, v51 op_sel_hi:[0,1,1]
	;; [unrolled: 1-line block ×3, first 2 shown]
	v_pk_fma_f16 v80, v105, v112, v80
	v_pk_fma_f16 v110, 0x3000, v110, v53 op_sel_hi:[0,1,1]
	v_pk_fma_f16 v86, v107, v112, v86
	v_pk_fma_f16 v92, v109, v112, v92
	;; [unrolled: 1-line block ×4, first 2 shown]
	v_and_or_b32 v74, v74, s25, 0x64006400
	v_pk_fma_f16 v86, v106, v113, v86
	v_pk_fma_f16 v92, v108, v113, v92
	;; [unrolled: 1-line block ×3, first 2 shown]
	ds_read2_b32 v[112:113], v35 offset0:66 offset1:67
	v_and_or_b32 v75, v75, s25, 0x64006400
	v_and_or_b32 v66, v66, s25, 0x64006400
	;; [unrolled: 1-line block ×3, first 2 shown]
	s_waitcnt lgkmcnt(0)
	v_pk_fma_f16 v80, v105, v112, v81
	v_pk_fma_f16 v81, v107, v112, v87
	;; [unrolled: 1-line block ×6, first 2 shown]
	ds_read2_b32 v[80:81], v35 offset0:130 offset1:131
	v_pk_fma_f16 v87, v108, v113, v87
	v_pk_fma_f16 v93, v110, v113, v93
	s_waitcnt lgkmcnt(0)
	v_pk_fma_f16 v82, v105, v80, v82
	v_pk_fma_f16 v88, v107, v80, v88
	;; [unrolled: 1-line block ×8, first 2 shown]
	ds_read2_b32 v[80:81], v35 offset0:194 offset1:195
	s_waitcnt lgkmcnt(0)
	v_pk_fma_f16 v83, v105, v80, v83
	v_pk_fma_f16 v89, v107, v80, v89
	;; [unrolled: 1-line block ×8, first 2 shown]
	v_mov_b32_e32 v80, s3
	s_add_i32 s3, s22, 0x508
	ds_read2_b32 v[80:81], v80 offset1:1
	s_waitcnt lgkmcnt(0)
	v_pk_fma_f16 v84, v105, v80, v84
	v_pk_fma_f16 v90, v107, v80, v90
	;; [unrolled: 1-line block ×8, first 2 shown]
	v_mov_b32_e32 v80, s3
	s_add_i32 s3, s22, 0x410
	ds_read2_b32 v[80:81], v80 offset1:1
	s_waitcnt lgkmcnt(0)
	v_pk_fma_f16 v85, v105, v80, v85
	v_pk_fma_f16 v91, v107, v80, v91
	;; [unrolled: 1-line block ×8, first 2 shown]
	v_sub_f16_e32 v81, 0xcc00, v71
	v_sub_f16_e32 v96, 0xcc00, v73
	v_mul_u32_u24_sdwa v73, v69, v26 dst_sel:DWORD dst_unused:UNUSED_PAD src0_sel:WORD_0 src1_sel:DWORD
	v_mul_u32_u24_sdwa v71, v70, v26 dst_sel:DWORD dst_unused:UNUSED_PAD src0_sel:WORD_0 src1_sel:DWORD
	;; [unrolled: 1-line block ×4, first 2 shown]
	v_pk_fma_f16 v66, 0x2400, v66, v73 op_sel_hi:[0,1,1]
	v_pk_fma_f16 v72, 0x2400, v72, v71 op_sel_hi:[0,1,1]
	;; [unrolled: 1-line block ×5, first 2 shown]
	ds_read2_b32 v[74:75], v35 offset0:4 offset1:5
	v_pk_fma_f16 v36, 0x2400, v36, v71 op_sel_hi:[0,1,1]
	v_pk_fma_f16 v34, 0x2400, v34, v70 op_sel_hi:[0,1,1]
	;; [unrolled: 1-line block ×3, first 2 shown]
	s_waitcnt lgkmcnt(0)
	v_pk_fma_f16 v96, v66, v74, v114
	v_pk_fma_f16 v86, v72, v74, v86
	v_pk_fma_f16 v92, v81, v74, v92
	v_pk_fma_f16 v74, v104, v74, v98
	v_pk_fma_f16 v105, v76, v75, v96
	v_pk_fma_f16 v86, v77, v75, v86
	v_pk_fma_f16 v92, v78, v75, v92
	v_pk_fma_f16 v106, v79, v75, v74
	ds_read2_b32 v[74:75], v35 offset0:68 offset1:69
	s_waitcnt lgkmcnt(0)
	v_pk_fma_f16 v96, v66, v74, v99
	v_pk_fma_f16 v97, v72, v74, v112
	v_pk_fma_f16 v87, v81, v74, v87
	v_pk_fma_f16 v74, v104, v74, v93
	v_pk_fma_f16 v93, v76, v75, v96
	v_pk_fma_f16 v107, v77, v75, v97
	v_pk_fma_f16 v87, v78, v75, v87
	v_pk_fma_f16 v108, v79, v75, v74
	ds_read2_b32 v[74:75], v35 offset0:132 offset1:133
	;; [unrolled: 10-line block ×3, first 2 shown]
	s_waitcnt lgkmcnt(0)
	v_pk_fma_f16 v82, v66, v74, v83
	v_pk_fma_f16 v83, v72, v74, v89
	;; [unrolled: 1-line block ×8, first 2 shown]
	v_mov_b32_e32 v74, s3
	s_add_i32 s3, s22, 0x510
	ds_read2_b32 v[74:75], v74 offset1:1
	s_waitcnt lgkmcnt(0)
	v_pk_fma_f16 v82, v66, v74, v84
	v_pk_fma_f16 v83, v72, v74, v90
	;; [unrolled: 1-line block ×4, first 2 shown]
	v_pk_add_f16 v102, v48, v56
	v_pk_fma_f16 v98, v76, v75, v82
	v_pk_fma_f16 v99, v77, v75, v83
	;; [unrolled: 1-line block ×4, first 2 shown]
	v_mov_b32_e32 v74, s3
	s_add_i32 s3, s22, 0x418
	ds_read2_b32 v[74:75], v74 offset1:1
	s_waitcnt lgkmcnt(0)
	v_pk_fma_f16 v66, v66, v74, v85
	v_pk_fma_f16 v72, v72, v74, v91
	;; [unrolled: 1-line block ×4, first 2 shown]
	v_pk_fma_f16 v80, 0x3000, v1, v51 op_sel_hi:[0,1,1]
	v_pk_fma_f16 v76, v76, v75, v66
	v_pk_fma_f16 v77, v77, v75, v72
	;; [unrolled: 1-line block ×4, first 2 shown]
	v_pk_fma_f16 v79, 0x3000, v0, v50 op_sel_hi:[0,1,1]
	v_and_or_b32 v0, v58, s19, 0x64006400
	v_pk_fma_f16 v81, 0x3000, v67, v52 op_sel_hi:[0,1,1]
	v_pk_fma_f16 v67, 0x3000, v68, v53 op_sel_hi:[0,1,1]
	v_pk_add_f16 v104, v47, v60
	v_pk_fma_f16 v103, 0x3000, v57, v51 op_sel_hi:[0,1,1]
	v_pk_add_f16 v68, v49, v0
	v_and_or_b32 v0, v59, s19, 0x64006400
	v_pk_add_f16 v74, v48, v0
	v_and_or_b32 v0, v62, s19, 0x64006400
	;; [unrolled: 2-line block ×3, first 2 shown]
	v_pk_add_f16 v72, v46, v0
	ds_read2_b32 v[0:1], v35 offset0:6 offset1:7
	s_waitcnt lgkmcnt(0)
	v_pk_fma_f16 v82, v79, v0, v105
	v_pk_fma_f16 v83, v80, v0, v86
	;; [unrolled: 1-line block ×4, first 2 shown]
	v_pk_add_f16 v106, v46, v64
	v_pk_fma_f16 v82, v68, v1, v82
	v_pk_fma_f16 v83, v74, v1, v83
	;; [unrolled: 1-line block ×4, first 2 shown]
	ds_read2_b32 v[0:1], v35 offset0:70 offset1:71
	v_pk_fma_f16 v105, 0x3000, v61, v52 op_sel_hi:[0,1,1]
	s_waitcnt lgkmcnt(0)
	v_pk_fma_f16 v86, v79, v0, v93
	v_pk_fma_f16 v88, v80, v0, v107
	;; [unrolled: 1-line block ×4, first 2 shown]
	v_pk_fma_f16 v107, 0x3000, v65, v53 op_sel_hi:[0,1,1]
	v_pk_fma_f16 v86, v68, v1, v86
	v_pk_fma_f16 v87, v74, v1, v88
	;; [unrolled: 1-line block ×4, first 2 shown]
	ds_read2_b32 v[0:1], v35 offset0:134 offset1:135
	s_waitcnt lgkmcnt(0)
	v_pk_fma_f16 v90, v79, v0, v109
	v_pk_fma_f16 v91, v80, v0, v110
	;; [unrolled: 1-line block ×8, first 2 shown]
	ds_read2_b32 v[0:1], v35 offset0:198 offset1:199
	s_waitcnt lgkmcnt(0)
	v_pk_fma_f16 v94, v79, v0, v94
	v_pk_fma_f16 v95, v80, v0, v95
	;; [unrolled: 1-line block ×8, first 2 shown]
	v_mov_b32_e32 v0, s3
	s_add_i32 s3, s22, 0x518
	ds_read2_b32 v[0:1], v0 offset1:1
	s_waitcnt lgkmcnt(0)
	v_pk_fma_f16 v98, v79, v0, v98
	v_pk_fma_f16 v99, v80, v0, v99
	;; [unrolled: 1-line block ×8, first 2 shown]
	v_mov_b32_e32 v0, s3
	s_add_i32 s3, s22, 0x420
	ds_read2_b32 v[0:1], v0 offset1:1
	s_waitcnt lgkmcnt(0)
	v_pk_fma_f16 v76, v79, v0, v76
	v_pk_fma_f16 v77, v80, v0, v77
	;; [unrolled: 1-line block ×8, first 2 shown]
	v_and_or_b32 v0, v58, s24, 0x64006400
	v_and_or_b32 v1, v58, s25, 0x64006400
	;; [unrolled: 1-line block ×4, first 2 shown]
	v_pk_fma_f16 v58, 0x3000, v0, v50 op_sel_hi:[0,1,1]
	v_and_or_b32 v0, v59, s24, 0x64006400
	v_pk_fma_f16 v74, 0x2400, v1, v73 op_sel_hi:[0,1,1]
	v_and_or_b32 v1, v59, s25, 0x64006400
	v_pk_fma_f16 v75, 0x3000, v75, v53 op_sel_hi:[0,1,1]
	v_pk_fma_f16 v63, 0x2400, v63, v69 op_sel_hi:[0,1,1]
	;; [unrolled: 1-line block ×3, first 2 shown]
	v_and_or_b32 v0, v62, s24, 0x64006400
	v_pk_fma_f16 v76, 0x2400, v1, v71 op_sel_hi:[0,1,1]
	v_and_or_b32 v62, v62, s25, 0x64006400
	v_pk_fma_f16 v77, 0x3000, v0, v52 op_sel_hi:[0,1,1]
	ds_read2_b32 v[0:1], v35 offset0:8 offset1:9
	v_pk_fma_f16 v62, 0x2400, v62, v70 op_sel_hi:[0,1,1]
	s_waitcnt lgkmcnt(0)
	v_pk_fma_f16 v78, v58, v0, v82
	v_pk_fma_f16 v79, v59, v0, v83
	v_pk_fma_f16 v80, v77, v0, v84
	v_pk_fma_f16 v0, v75, v0, v85
	v_pk_fma_f16 v78, v74, v1, v78
	v_pk_fma_f16 v79, v76, v1, v79
	v_pk_fma_f16 v80, v62, v1, v80
	v_pk_fma_f16 v81, v63, v1, v0
	ds_read2_b32 v[0:1], v35 offset0:72 offset1:73
	s_waitcnt lgkmcnt(0)
	v_pk_fma_f16 v82, v58, v0, v86
	v_pk_fma_f16 v83, v59, v0, v87
	v_pk_fma_f16 v84, v77, v0, v88
	v_pk_fma_f16 v0, v75, v0, v89
	v_pk_fma_f16 v82, v74, v1, v82
	v_pk_fma_f16 v83, v76, v1, v83
	v_pk_fma_f16 v84, v62, v1, v84
	v_pk_fma_f16 v85, v63, v1, v0
	ds_read2_b32 v[0:1], v35 offset0:136 offset1:137
	;; [unrolled: 10-line block ×3, first 2 shown]
	s_waitcnt lgkmcnt(0)
	v_pk_fma_f16 v90, v58, v0, v94
	v_pk_fma_f16 v91, v59, v0, v95
	;; [unrolled: 1-line block ×8, first 2 shown]
	v_mov_b32_e32 v0, s3
	s_add_i32 s3, s22, 0x520
	ds_read2_b32 v[0:1], v0 offset1:1
	s_waitcnt lgkmcnt(0)
	v_pk_fma_f16 v94, v58, v0, v98
	v_pk_fma_f16 v95, v59, v0, v99
	;; [unrolled: 1-line block ×4, first 2 shown]
	v_pk_add_f16 v100, v49, v54
	v_pk_fma_f16 v94, v74, v1, v94
	v_pk_fma_f16 v95, v76, v1, v95
	;; [unrolled: 1-line block ×4, first 2 shown]
	v_mov_b32_e32 v0, s3
	v_pk_fma_f16 v101, 0x3000, v55, v50 op_sel_hi:[0,1,1]
	ds_read2_b32 v[54:55], v35 offset0:10 offset1:11
	s_add_i32 s3, s22, 0x428
	ds_read2_b32 v[0:1], v0 offset1:1
	s_waitcnt lgkmcnt(1)
	v_pk_fma_f16 v56, v104, v54, v80
	v_pk_fma_f16 v57, v106, v54, v81
	s_waitcnt lgkmcnt(0)
	v_pk_fma_f16 v58, v58, v0, v66
	v_pk_fma_f16 v59, v59, v0, v67
	;; [unrolled: 1-line block ×6, first 2 shown]
	ds_read2_b32 v[58:59], v35 offset0:74 offset1:75
	v_pk_fma_f16 v98, v62, v1, v66
	v_pk_fma_f16 v99, v63, v1, v0
	ds_read2_b32 v[62:63], v35 offset0:138 offset1:139
	ds_read2_b32 v[66:67], v35 offset0:202 offset1:203
	v_pk_fma_f16 v0, v100, v54, v78
	v_pk_fma_f16 v1, v102, v54, v79
	;; [unrolled: 1-line block ×6, first 2 shown]
	s_waitcnt lgkmcnt(2)
	v_pk_fma_f16 v56, v100, v58, v82
	v_pk_fma_f16 v57, v102, v58, v83
	;; [unrolled: 1-line block ×4, first 2 shown]
	s_waitcnt lgkmcnt(0)
	v_pk_fma_f16 v68, v104, v66, v92
	v_pk_fma_f16 v56, v101, v59, v56
	;; [unrolled: 1-line block ×5, first 2 shown]
	ds_read2_b32 v[84:85], v35 offset0:12 offset1:13
	v_pk_fma_f16 v60, v100, v62, v86
	v_pk_fma_f16 v61, v102, v62, v87
	;; [unrolled: 1-line block ×12, first 2 shown]
	v_mov_b32_e32 v68, s3
	s_add_i32 s3, s22, 0x528
	v_pk_fma_f16 v64, v101, v67, v64
	v_pk_fma_f16 v65, v103, v67, v65
	;; [unrolled: 1-line block ×3, first 2 shown]
	ds_read2_b32 v[74:75], v68 offset1:1
	v_and_or_b32 v83, v44, s19, 0x64006400
	v_pk_add_f16 v83, v46, v83
	s_waitcnt lgkmcnt(1)
	v_pk_fma_f16 v55, v83, v84, v55
	s_waitcnt lgkmcnt(0)
	v_pk_fma_f16 v78, v104, v74, v96
	v_pk_fma_f16 v68, v100, v74, v94
	;; [unrolled: 1-line block ×5, first 2 shown]
	v_mov_b32_e32 v78, s3
	v_pk_fma_f16 v68, v101, v75, v68
	v_pk_fma_f16 v72, v103, v75, v72
	;; [unrolled: 1-line block ×3, first 2 shown]
	s_add_i32 s3, s22, 0x430
	ds_read2_b32 v[78:79], v78 offset1:1
	s_waitcnt lgkmcnt(0)
	v_pk_fma_f16 v77, v100, v78, v77
	v_pk_fma_f16 v80, v102, v78, v76
	;; [unrolled: 1-line block ×6, first 2 shown]
	v_and_or_b32 v80, v41, s24, 0x64006400
	v_pk_fma_f16 v78, v105, v79, v81
	v_and_or_b32 v81, v39, s19, 0x64006400
	v_pk_fma_f16 v79, v107, v79, v82
	v_and_or_b32 v82, v38, s19, 0x64006400
	v_pk_fma_f16 v50, 0x3000, v80, v50 op_sel_hi:[0,1,1]
	v_and_or_b32 v80, v39, s24, 0x64006400
	v_pk_add_f16 v81, v48, v81
	v_pk_add_f16 v82, v47, v82
	v_pk_fma_f16 v51, 0x3000, v80, v51 op_sel_hi:[0,1,1]
	v_and_or_b32 v80, v38, s24, 0x64006400
	v_pk_fma_f16 v1, v81, v84, v1
	v_pk_fma_f16 v54, v82, v84, v54
	ds_read2_b32 v[38:39], v35 offset0:14 offset1:15
	v_pk_fma_f16 v52, 0x3000, v80, v52 op_sel_hi:[0,1,1]
	v_and_or_b32 v80, v44, s24, 0x64006400
	v_pk_fma_f16 v86, v51, v85, v1
	v_pk_fma_f16 v87, v52, v85, v54
	v_pk_fma_f16 v53, 0x3000, v80, v53 op_sel_hi:[0,1,1]
	v_and_or_b32 v80, v41, s19, 0x64006400
	v_pk_add_f16 v80, v49, v80
	v_pk_fma_f16 v0, v80, v84, v0
	s_waitcnt lgkmcnt(0)
	v_pk_fma_f16 v41, v36, v38, v86
	v_pk_fma_f16 v44, v34, v38, v87
	v_pk_fma_f16 v84, v50, v85, v0
	ds_read2_b32 v[0:1], v35 offset0:76 offset1:77
	v_pk_fma_f16 v85, v53, v85, v55
	v_pk_fma_f16 v43, v32, v39, v41
	;; [unrolled: 1-line block ×6, first 2 shown]
	ds_read2_b32 v[40:41], v35 offset0:78 offset1:79
	v_pk_fma_f16 v39, v3, v39, v45
	s_waitcnt lgkmcnt(1)
	v_pk_fma_f16 v54, v80, v0, v56
	v_pk_fma_f16 v55, v81, v0, v57
	;; [unrolled: 1-line block ×8, first 2 shown]
	ds_read2_b32 v[0:1], v35 offset0:140 offset1:141
	s_waitcnt lgkmcnt(1)
	v_pk_fma_f16 v44, v37, v40, v88
	v_pk_fma_f16 v45, v36, v40, v89
	;; [unrolled: 1-line block ×6, first 2 shown]
	ds_read2_b32 v[44:45], v35 offset0:142 offset1:143
	v_pk_fma_f16 v40, v2, v41, v48
	v_pk_fma_f16 v41, v3, v41, v49
	s_waitcnt lgkmcnt(1)
	v_pk_fma_f16 v54, v80, v0, v60
	v_pk_fma_f16 v55, v81, v0, v61
	;; [unrolled: 1-line block ×8, first 2 shown]
	ds_read2_b32 v[0:1], v35 offset0:204 offset1:205
	s_waitcnt lgkmcnt(1)
	v_pk_fma_f16 v48, v37, v44, v60
	v_pk_fma_f16 v49, v31, v45, v48
	s_waitcnt lgkmcnt(0)
	v_pk_fma_f16 v54, v80, v0, v64
	v_pk_fma_f16 v55, v81, v0, v65
	;; [unrolled: 1-line block ×8, first 2 shown]
	v_mov_b32_e32 v0, s3
	s_add_i32 s3, s22, 0x530
	ds_read2_b32 v[0:1], v0 offset1:1
	s_waitcnt lgkmcnt(0)
	v_pk_fma_f16 v54, v80, v0, v68
	v_pk_fma_f16 v55, v81, v0, v72
	;; [unrolled: 1-line block ×8, first 2 shown]
	v_mov_b32_e32 v0, s3
	s_add_i32 s3, s22, 0x438
	ds_read2_b32 v[55:56], v0 offset1:1
	s_waitcnt lgkmcnt(0)
	v_pk_fma_f16 v0, v80, v55, v76
	v_pk_fma_f16 v68, v82, v55, v78
	;; [unrolled: 1-line block ×7, first 2 shown]
	ds_read2_b32 v[60:61], v35 offset0:206 offset1:207
	v_pk_fma_f16 v1, v51, v56, v1
	v_pk_fma_f16 v51, v53, v56, v55
	;; [unrolled: 1-line block ×7, first 2 shown]
	s_waitcnt lgkmcnt(0)
	v_pk_fma_f16 v35, v37, v60, v64
	v_pk_fma_f16 v53, v34, v60, v66
	;; [unrolled: 1-line block ×6, first 2 shown]
	v_mov_b32_e32 v53, s3
	v_pk_fma_f16 v56, v32, v61, v48
	v_pk_fma_f16 v48, v3, v61, v60
	s_add_i32 s3, s22, 0x538
	s_add_i32 s22, s22, 64
	ds_read2_b32 v[60:61], v53 offset1:1
	s_cmp_ge_i32 s20, s21
	s_waitcnt lgkmcnt(0)
	v_pk_fma_f16 v53, v37, v60, v54
	v_pk_fma_f16 v54, v36, v60, v57
	;; [unrolled: 1-line block ×7, first 2 shown]
	v_mov_b32_e32 v57, s3
	v_pk_fma_f16 v54, v3, v61, v58
	v_add_co_u32 v7, s3, v7, s9
	v_add_co_ci_u32_e64 v8, null, s8, v8, s3
	ds_read2_b32 v[57:58], v57 offset1:1
	s_waitcnt lgkmcnt(0)
	v_pk_fma_f16 v0, v37, v57, v0
	v_pk_fma_f16 v1, v36, v57, v1
	;; [unrolled: 1-line block ×4, first 2 shown]
	v_pack_b32_f16 v36, v59, v60
	v_pk_fma_f16 v0, v31, v58, v0
	v_pk_fma_f16 v1, v32, v58, v1
	;; [unrolled: 1-line block ×4, first 2 shown]
	v_pack_b32_f16 v31, v42, v43
	v_perm_b32 v32, v43, v42, 0x7060302
	v_pack_b32_f16 v33, v46, v47
	v_perm_b32 v34, v47, v46, 0x7060302
	v_perm_b32 v37, v60, v59, 0x7060302
	v_pack_b32_f16 v42, v0, v1
	v_pk_add_f16 v31, v31, v32
	v_perm_b32 v0, v1, v0, 0x7060302
	v_pk_add_f16 v32, v33, v34
	v_pack_b32_f16 v33, v55, v56
	v_perm_b32 v34, v56, v55, 0x7060302
	v_pk_fma_f16 v22, v31, v9, v22
	v_pack_b32_f16 v31, v49, v52
	v_pk_fma_f16 v20, v32, v9, v20
	v_perm_b32 v32, v52, v49, 0x7060302
	v_pack_b32_f16 v1, v38, v39
	v_perm_b32 v38, v39, v38, 0x7060302
	v_pk_add_f16 v0, v42, v0
	v_pk_add_f16 v31, v31, v32
	;; [unrolled: 1-line block ×5, first 2 shown]
	v_pk_fma_f16 v11, v0, v9, v11
	v_pk_fma_f16 v17, v31, v9, v17
	;; [unrolled: 1-line block ×5, first 2 shown]
	v_pack_b32_f16 v0, v40, v41
	v_perm_b32 v1, v41, v40, 0x7060302
	v_pack_b32_f16 v31, v44, v45
	v_perm_b32 v32, v45, v44, 0x7060302
	;; [unrolled: 2-line block ×5, first 2 shown]
	v_pk_add_f16 v0, v0, v1
	v_pk_add_f16 v1, v31, v32
	v_pk_add_f16 v3, v33, v34
	v_pk_add_f16 v31, v35, v36
	v_pk_add_f16 v2, v37, v2
	v_pk_fma_f16 v19, v0, v10, v19
	v_pk_fma_f16 v16, v1, v10, v16
	;; [unrolled: 1-line block ×5, first 2 shown]
	s_cbranch_scc1 .LBB36_52
.LBB36_35:                              ; =>This Inner Loop Header: Depth=1
	s_cmp_lg_u32 s20, s23
	s_cbranch_scc1 .LBB36_34
; %bb.36:                               ;   in Loop: Header=BB36_35 Depth=1
	s_add_i32 s18, s18, 1
                                        ; implicit-def: $vgpr2
	s_mul_i32 s26, s18, s16
	s_ashr_i32 s3, s26, 31
	s_lshr_b32 s3, s3, 27
	s_add_i32 s3, s26, s3
	s_ashr_i32 s3, s3, 5
	v_mad_u64_u32 v[0:1], null, s3, 3, v[6:7]
	v_ashrrev_i32_e32 v1, 31, v0
	v_lshlrev_b64 v[0:1], 2, v[0:1]
	v_add_co_u32 v0, s3, s10, v0
	v_add_co_ci_u32_e64 v1, null, s11, v1, s3
	global_load_dword v3, v[0:1], off
	s_and_saveexec_b32 s3, vcc_lo
	s_xor_b32 s3, exec_lo, s3
	s_cbranch_execz .LBB36_50
; %bb.37:                               ;   in Loop: Header=BB36_35 Depth=1
                                        ; implicit-def: $vgpr2
	s_and_saveexec_b32 s27, s0
	s_xor_b32 s27, exec_lo, s27
	s_cbranch_execz .LBB36_47
; %bb.38:                               ;   in Loop: Header=BB36_35 Depth=1
                                        ; implicit-def: $vgpr2
	s_and_saveexec_b32 s28, s1
	s_xor_b32 s28, exec_lo, s28
	s_cbranch_execz .LBB36_44
; %bb.39:                               ;   in Loop: Header=BB36_35 Depth=1
                                        ; implicit-def: $vgpr2
	s_and_saveexec_b32 s29, s2
	s_xor_b32 s29, exec_lo, s29
	s_cbranch_execz .LBB36_41
; %bb.40:                               ;   in Loop: Header=BB36_35 Depth=1
	s_waitcnt vmcnt(0)
	v_lshrrev_b32_e32 v2, v24, v3
                                        ; implicit-def: $vgpr0_vgpr1
                                        ; implicit-def: $vgpr3
.LBB36_41:                              ;   in Loop: Header=BB36_35 Depth=1
	s_andn2_saveexec_b32 s29, s29
	s_cbranch_execz .LBB36_43
; %bb.42:                               ;   in Loop: Header=BB36_35 Depth=1
	global_load_dword v0, v[0:1], off offset:4
	s_waitcnt vmcnt(0)
	v_alignbit_b32 v0, v0, v3, 28
	v_and_b32_e32 v2, 0xfff, v0
.LBB36_43:                              ;   in Loop: Header=BB36_35 Depth=1
	s_or_b32 exec_lo, exec_lo, s29
                                        ; implicit-def: $vgpr3
.LBB36_44:                              ;   in Loop: Header=BB36_35 Depth=1
	s_andn2_saveexec_b32 s28, s28
	s_cbranch_execz .LBB36_46
; %bb.45:                               ;   in Loop: Header=BB36_35 Depth=1
	s_waitcnt vmcnt(0)
	v_lshrrev_b32_e32 v2, v25, v3
.LBB36_46:                              ;   in Loop: Header=BB36_35 Depth=1
	s_or_b32 exec_lo, exec_lo, s28
                                        ; implicit-def: $vgpr0_vgpr1
                                        ; implicit-def: $vgpr3
.LBB36_47:                              ;   in Loop: Header=BB36_35 Depth=1
	s_andn2_saveexec_b32 s27, s27
	s_cbranch_execz .LBB36_49
; %bb.48:                               ;   in Loop: Header=BB36_35 Depth=1
	global_load_dword v0, v[0:1], off offset:4
	s_waitcnt vmcnt(0)
	v_perm_b32 v0, v3, v0, 0x2010007
	v_and_b32_e32 v2, 0xfff, v0
.LBB36_49:                              ;   in Loop: Header=BB36_35 Depth=1
	s_or_b32 exec_lo, exec_lo, s27
                                        ; implicit-def: $vgpr3
.LBB36_50:                              ;   in Loop: Header=BB36_35 Depth=1
	s_andn2_saveexec_b32 s3, s3
	s_cbranch_execz .LBB36_33
; %bb.51:                               ;   in Loop: Header=BB36_35 Depth=1
	s_waitcnt vmcnt(0)
	v_lshrrev_b32_e32 v2, v18, v3
	s_branch .LBB36_33
.LBB36_52:
	v_mad_u64_u32 v[0:1], null, s7, s16, v[4:5]
	s_mov_b32 s0, 0
	v_ashrrev_i32_e32 v1, 31, v0
	v_lshlrev_b64 v[1:2], 1, v[0:1]
	v_add_co_u32 v1, vcc_lo, s14, v1
	v_add_co_ci_u32_e64 v2, null, s15, v2, vcc_lo
	global_load_dword v4, v[1:2], off
.LBB36_53:                              ; =>This Inner Loop Header: Depth=1
	s_waitcnt vmcnt(0)
	v_pk_add_f16 v3, v22, v4
	global_atomic_cmpswap v3, v[1:2], v[3:4], off glc
	s_waitcnt vmcnt(0)
	v_cmp_eq_u32_e32 vcc_lo, v4, v3
	v_mov_b32_e32 v4, v3
	s_or_b32 s0, vcc_lo, s0
	s_andn2_b32 exec_lo, exec_lo, s0
	s_cbranch_execnz .LBB36_53
; %bb.54:
	s_or_b32 exec_lo, exec_lo, s0
	global_load_dword v4, v[1:2], off offset:4
	s_mov_b32 s0, 0
.LBB36_55:                              ; =>This Inner Loop Header: Depth=1
	s_waitcnt vmcnt(0)
	v_pk_add_f16 v3, v21, v4
	global_atomic_cmpswap v3, v[1:2], v[3:4], off offset:4 glc
	s_waitcnt vmcnt(0)
	v_cmp_eq_u32_e32 vcc_lo, v4, v3
	v_mov_b32_e32 v4, v3
	s_or_b32 s0, vcc_lo, s0
	s_andn2_b32 exec_lo, exec_lo, s0
	s_cbranch_execnz .LBB36_55
; %bb.56:
	s_or_b32 exec_lo, exec_lo, s0
	v_add_nc_u32_e32 v0, s16, v0
	s_mov_b32 s0, 0
	v_ashrrev_i32_e32 v1, 31, v0
	v_lshlrev_b64 v[1:2], 1, v[0:1]
	v_add_co_u32 v1, vcc_lo, s14, v1
	v_add_co_ci_u32_e64 v2, null, s15, v2, vcc_lo
	global_load_dword v4, v[1:2], off
.LBB36_57:                              ; =>This Inner Loop Header: Depth=1
	s_waitcnt vmcnt(0)
	v_pk_add_f16 v3, v20, v4
	global_atomic_cmpswap v3, v[1:2], v[3:4], off glc
	s_waitcnt vmcnt(0)
	v_cmp_eq_u32_e32 vcc_lo, v4, v3
	v_mov_b32_e32 v4, v3
	s_or_b32 s0, vcc_lo, s0
	s_andn2_b32 exec_lo, exec_lo, s0
	s_cbranch_execnz .LBB36_57
; %bb.58:
	s_or_b32 exec_lo, exec_lo, s0
	global_load_dword v4, v[1:2], off offset:4
	s_mov_b32 s0, 0
.LBB36_59:                              ; =>This Inner Loop Header: Depth=1
	s_waitcnt vmcnt(0)
	v_pk_add_f16 v3, v19, v4
	global_atomic_cmpswap v3, v[1:2], v[3:4], off offset:4 glc
	s_waitcnt vmcnt(0)
	v_cmp_eq_u32_e32 vcc_lo, v4, v3
	v_mov_b32_e32 v4, v3
	s_or_b32 s0, vcc_lo, s0
	s_andn2_b32 exec_lo, exec_lo, s0
	s_cbranch_execnz .LBB36_59
; %bb.60:
	s_or_b32 exec_lo, exec_lo, s0
	v_add_nc_u32_e32 v0, s16, v0
	;; [unrolled: 33-line block ×5, first 2 shown]
	s_mov_b32 s0, 0
	v_ashrrev_i32_e32 v1, 31, v0
	v_lshlrev_b64 v[0:1], 1, v[0:1]
	v_add_co_u32 v0, vcc_lo, s14, v0
	v_add_co_ci_u32_e64 v1, null, s15, v1, vcc_lo
	global_load_dword v3, v[0:1], off
.LBB36_73:                              ; =>This Inner Loop Header: Depth=1
	s_waitcnt vmcnt(0)
	v_pk_add_f16 v2, v11, v3
	global_atomic_cmpswap v2, v[0:1], v[2:3], off glc
	s_waitcnt vmcnt(0)
	v_cmp_eq_u32_e32 vcc_lo, v3, v2
	v_mov_b32_e32 v3, v2
	s_or_b32 s0, vcc_lo, s0
	s_andn2_b32 exec_lo, exec_lo, s0
	s_cbranch_execnz .LBB36_73
; %bb.74:
	s_or_b32 exec_lo, exec_lo, s0
	global_load_dword v3, v[0:1], off offset:4
	s_mov_b32 s0, 0
.LBB36_75:                              ; =>This Inner Loop Header: Depth=1
	s_waitcnt vmcnt(0)
	v_pk_add_f16 v2, v5, v3
	global_atomic_cmpswap v2, v[0:1], v[2:3], off offset:4 glc
	s_waitcnt vmcnt(0)
	v_cmp_eq_u32_e32 vcc_lo, v3, v2
	v_mov_b32_e32 v3, v2
	s_or_b32 s0, vcc_lo, s0
	s_andn2_b32 exec_lo, exec_lo, s0
	s_cbranch_execnz .LBB36_75
.LBB36_76:
	s_endpgm
	.section	.rodata,"a",@progbits
	.p2align	6, 0x0
	.amdhsa_kernel _ZN4vllm4gptq33gemm_half_q_half_gptq_3bit_kernelILb1ELi6EEEvPK6__halfPKjS6_S4_PS2_iiiibPKi
		.amdhsa_group_segment_fixed_size 1536
		.amdhsa_private_segment_fixed_size 0
		.amdhsa_kernarg_size 72
		.amdhsa_user_sgpr_count 6
		.amdhsa_user_sgpr_private_segment_buffer 1
		.amdhsa_user_sgpr_dispatch_ptr 0
		.amdhsa_user_sgpr_queue_ptr 0
		.amdhsa_user_sgpr_kernarg_segment_ptr 1
		.amdhsa_user_sgpr_dispatch_id 0
		.amdhsa_user_sgpr_flat_scratch_init 0
		.amdhsa_user_sgpr_private_segment_size 0
		.amdhsa_wavefront_size32 1
		.amdhsa_uses_dynamic_stack 0
		.amdhsa_system_sgpr_private_segment_wavefront_offset 0
		.amdhsa_system_sgpr_workgroup_id_x 1
		.amdhsa_system_sgpr_workgroup_id_y 1
		.amdhsa_system_sgpr_workgroup_id_z 1
		.amdhsa_system_sgpr_workgroup_info 0
		.amdhsa_system_vgpr_workitem_id 0
		.amdhsa_next_free_vgpr 115
		.amdhsa_next_free_sgpr 30
		.amdhsa_reserve_vcc 1
		.amdhsa_reserve_flat_scratch 0
		.amdhsa_float_round_mode_32 0
		.amdhsa_float_round_mode_16_64 0
		.amdhsa_float_denorm_mode_32 3
		.amdhsa_float_denorm_mode_16_64 3
		.amdhsa_dx10_clamp 1
		.amdhsa_ieee_mode 1
		.amdhsa_fp16_overflow 0
		.amdhsa_workgroup_processor_mode 1
		.amdhsa_memory_ordered 1
		.amdhsa_forward_progress 1
		.amdhsa_shared_vgpr_count 0
		.amdhsa_exception_fp_ieee_invalid_op 0
		.amdhsa_exception_fp_denorm_src 0
		.amdhsa_exception_fp_ieee_div_zero 0
		.amdhsa_exception_fp_ieee_overflow 0
		.amdhsa_exception_fp_ieee_underflow 0
		.amdhsa_exception_fp_ieee_inexact 0
		.amdhsa_exception_int_div_zero 0
	.end_amdhsa_kernel
	.section	.text._ZN4vllm4gptq33gemm_half_q_half_gptq_3bit_kernelILb1ELi6EEEvPK6__halfPKjS6_S4_PS2_iiiibPKi,"axG",@progbits,_ZN4vllm4gptq33gemm_half_q_half_gptq_3bit_kernelILb1ELi6EEEvPK6__halfPKjS6_S4_PS2_iiiibPKi,comdat
.Lfunc_end36:
	.size	_ZN4vllm4gptq33gemm_half_q_half_gptq_3bit_kernelILb1ELi6EEEvPK6__halfPKjS6_S4_PS2_iiiibPKi, .Lfunc_end36-_ZN4vllm4gptq33gemm_half_q_half_gptq_3bit_kernelILb1ELi6EEEvPK6__halfPKjS6_S4_PS2_iiiibPKi
                                        ; -- End function
	.set _ZN4vllm4gptq33gemm_half_q_half_gptq_3bit_kernelILb1ELi6EEEvPK6__halfPKjS6_S4_PS2_iiiibPKi.num_vgpr, 115
	.set _ZN4vllm4gptq33gemm_half_q_half_gptq_3bit_kernelILb1ELi6EEEvPK6__halfPKjS6_S4_PS2_iiiibPKi.num_agpr, 0
	.set _ZN4vllm4gptq33gemm_half_q_half_gptq_3bit_kernelILb1ELi6EEEvPK6__halfPKjS6_S4_PS2_iiiibPKi.numbered_sgpr, 30
	.set _ZN4vllm4gptq33gemm_half_q_half_gptq_3bit_kernelILb1ELi6EEEvPK6__halfPKjS6_S4_PS2_iiiibPKi.num_named_barrier, 0
	.set _ZN4vllm4gptq33gemm_half_q_half_gptq_3bit_kernelILb1ELi6EEEvPK6__halfPKjS6_S4_PS2_iiiibPKi.private_seg_size, 0
	.set _ZN4vllm4gptq33gemm_half_q_half_gptq_3bit_kernelILb1ELi6EEEvPK6__halfPKjS6_S4_PS2_iiiibPKi.uses_vcc, 1
	.set _ZN4vllm4gptq33gemm_half_q_half_gptq_3bit_kernelILb1ELi6EEEvPK6__halfPKjS6_S4_PS2_iiiibPKi.uses_flat_scratch, 0
	.set _ZN4vllm4gptq33gemm_half_q_half_gptq_3bit_kernelILb1ELi6EEEvPK6__halfPKjS6_S4_PS2_iiiibPKi.has_dyn_sized_stack, 0
	.set _ZN4vllm4gptq33gemm_half_q_half_gptq_3bit_kernelILb1ELi6EEEvPK6__halfPKjS6_S4_PS2_iiiibPKi.has_recursion, 0
	.set _ZN4vllm4gptq33gemm_half_q_half_gptq_3bit_kernelILb1ELi6EEEvPK6__halfPKjS6_S4_PS2_iiiibPKi.has_indirect_call, 0
	.section	.AMDGPU.csdata,"",@progbits
; Kernel info:
; codeLenInByte = 9408
; TotalNumSgprs: 32
; NumVgprs: 115
; ScratchSize: 0
; MemoryBound: 0
; FloatMode: 240
; IeeeMode: 1
; LDSByteSize: 1536 bytes/workgroup (compile time only)
; SGPRBlocks: 0
; VGPRBlocks: 14
; NumSGPRsForWavesPerEU: 32
; NumVGPRsForWavesPerEU: 115
; Occupancy: 8
; WaveLimiterHint : 0
; COMPUTE_PGM_RSRC2:SCRATCH_EN: 0
; COMPUTE_PGM_RSRC2:USER_SGPR: 6
; COMPUTE_PGM_RSRC2:TRAP_HANDLER: 0
; COMPUTE_PGM_RSRC2:TGID_X_EN: 1
; COMPUTE_PGM_RSRC2:TGID_Y_EN: 1
; COMPUTE_PGM_RSRC2:TGID_Z_EN: 1
; COMPUTE_PGM_RSRC2:TIDIG_COMP_CNT: 0
	.section	.text._ZN4vllm4gptq33gemm_half_q_half_gptq_4bit_kernelILb1ELi6EEEvPK6__halfPKjS6_S4_PS2_iiiibPKi,"axG",@progbits,_ZN4vllm4gptq33gemm_half_q_half_gptq_4bit_kernelILb1ELi6EEEvPK6__halfPKjS6_S4_PS2_iiiibPKi,comdat
	.protected	_ZN4vllm4gptq33gemm_half_q_half_gptq_4bit_kernelILb1ELi6EEEvPK6__halfPKjS6_S4_PS2_iiiibPKi ; -- Begin function _ZN4vllm4gptq33gemm_half_q_half_gptq_4bit_kernelILb1ELi6EEEvPK6__halfPKjS6_S4_PS2_iiiibPKi
	.globl	_ZN4vllm4gptq33gemm_half_q_half_gptq_4bit_kernelILb1ELi6EEEvPK6__halfPKjS6_S4_PS2_iiiibPKi
	.p2align	8
	.type	_ZN4vllm4gptq33gemm_half_q_half_gptq_4bit_kernelILb1ELi6EEEvPK6__halfPKjS6_S4_PS2_iiiibPKi,@function
_ZN4vllm4gptq33gemm_half_q_half_gptq_4bit_kernelILb1ELi6EEEvPK6__halfPKjS6_S4_PS2_iiiibPKi: ; @_ZN4vllm4gptq33gemm_half_q_half_gptq_4bit_kernelILb1ELi6EEEvPK6__halfPKjS6_S4_PS2_iiiibPKi
; %bb.0:
	s_load_dwordx4 s[0:3], s[4:5], 0x2c
	s_lshl_b32 s18, s8, 7
	s_mul_i32 s7, s7, 6
	s_add_i32 s8, s18, 0x80
	s_mov_b32 s20, exec_lo
	v_cvt_f64_u32_e32 v[1:2], s8
	s_load_dwordx8 s[8:15], s[4:5], 0x8
	s_waitcnt lgkmcnt(0)
	v_cvt_f64_i32_e32 v[3:4], s1
	v_min_f64 v[1:2], v[1:2], v[3:4]
	v_cvt_i32_f64_e32 v2, v[1:2]
	v_add_nc_u32_e32 v1, s18, v0
	v_readfirstlane_b32 s19, v2
	v_cmpx_lt_u32_e64 v1, v2
	s_cbranch_execz .LBB37_14
; %bb.1:
	s_clause 0x1
	s_load_dwordx2 s[16:17], s[4:5], 0x40
	s_load_dwordx2 s[4:5], s[4:5], 0x0
	v_mov_b32_e32 v2, 0
	v_lshlrev_b64 v[3:4], 2, v[1:2]
	v_mov_b32_e32 v6, v2
	v_mov_b32_e32 v5, v1
	s_waitcnt lgkmcnt(0)
	v_add_co_u32 v3, vcc_lo, s16, v3
	v_add_co_ci_u32_e64 v4, null, s17, v4, vcc_lo
	s_cmp_lg_u64 s[16:17], 0
	s_cselect_b32 s21, -1, 0
	s_cmp_eq_u64 s[16:17], 0
	s_cbranch_scc1 .LBB37_3
; %bb.2:
	global_load_dword v5, v[3:4], off
	s_waitcnt vmcnt(0)
	v_ashrrev_i32_e32 v6, 31, v5
.LBB37_3:
	s_mul_i32 s16, s7, s1
	v_lshlrev_b64 v[5:6], 1, v[5:6]
	s_ashr_i32 s17, s16, 31
	v_cndmask_b32_e64 v8, 0, 1, s21
	s_lshl_b64 s[22:23], s[16:17], 1
	v_lshlrev_b32_e32 v7, 1, v0
	s_add_u32 s17, s4, s22
	s_addc_u32 s22, s5, s23
	v_add_co_u32 v5, vcc_lo, s17, v5
	v_add_co_ci_u32_e64 v6, null, s22, v6, vcc_lo
	s_andn2_b32 vcc_lo, exec_lo, s21
	global_load_ushort v9, v[5:6], off
	v_mov_b32_e32 v6, v2
	v_mov_b32_e32 v5, v1
	s_waitcnt vmcnt(0)
	ds_write_b16 v7, v9
	s_cbranch_vccnz .LBB37_5
; %bb.4:
	global_load_dword v5, v[3:4], off
	s_waitcnt vmcnt(0)
	v_ashrrev_i32_e32 v6, 31, v5
.LBB37_5:
	s_add_i32 s16, s16, s1
	v_lshlrev_b64 v[5:6], 1, v[5:6]
	s_ashr_i32 s17, s16, 31
	s_lshl_b64 s[22:23], s[16:17], 1
	s_add_u32 s17, s4, s22
	s_addc_u32 s21, s5, s23
	v_add_co_u32 v5, vcc_lo, s17, v5
	v_add_co_ci_u32_e64 v6, null, s21, v6, vcc_lo
	v_cmp_ne_u32_e32 vcc_lo, 1, v8
	global_load_ushort v9, v[5:6], off
	v_mov_b32_e32 v6, v2
	v_mov_b32_e32 v5, v1
	s_waitcnt vmcnt(0)
	ds_write_b16 v7, v9 offset:256
	s_cbranch_vccnz .LBB37_7
; %bb.6:
	global_load_dword v5, v[3:4], off
	s_waitcnt vmcnt(0)
	v_ashrrev_i32_e32 v6, 31, v5
.LBB37_7:
	s_add_i32 s16, s16, s1
	v_lshlrev_b64 v[5:6], 1, v[5:6]
	s_ashr_i32 s17, s16, 31
	s_lshl_b64 s[22:23], s[16:17], 1
	s_add_u32 s17, s4, s22
	s_addc_u32 s21, s5, s23
	v_add_co_u32 v5, vcc_lo, s17, v5
	v_add_co_ci_u32_e64 v6, null, s21, v6, vcc_lo
	v_cmp_ne_u32_e32 vcc_lo, 1, v8
	global_load_ushort v9, v[5:6], off
	v_mov_b32_e32 v6, v2
	v_mov_b32_e32 v5, v1
	s_waitcnt vmcnt(0)
	ds_write_b16 v7, v9 offset:512
	;; [unrolled: 20-line block ×3, first 2 shown]
	s_cbranch_vccnz .LBB37_11
; %bb.10:
	global_load_dword v5, v[3:4], off
	s_waitcnt vmcnt(0)
	v_ashrrev_i32_e32 v6, 31, v5
.LBB37_11:
	s_add_i32 s16, s16, s1
	v_lshlrev_b64 v[5:6], 1, v[5:6]
	s_ashr_i32 s17, s16, 31
	s_lshl_b64 s[22:23], s[16:17], 1
	s_add_u32 s17, s4, s22
	s_addc_u32 s21, s5, s23
	v_add_co_u32 v5, vcc_lo, s17, v5
	v_add_co_ci_u32_e64 v6, null, s21, v6, vcc_lo
	v_cmp_ne_u32_e32 vcc_lo, 1, v8
	global_load_ushort v5, v[5:6], off
	s_waitcnt vmcnt(0)
	ds_write_b16 v7, v5 offset:1024
	s_cbranch_vccnz .LBB37_13
; %bb.12:
	global_load_dword v1, v[3:4], off
	s_waitcnt vmcnt(0)
	v_ashrrev_i32_e32 v2, 31, v1
.LBB37_13:
	s_add_i32 s16, s16, s1
	v_lshlrev_b64 v[1:2], 1, v[1:2]
	s_ashr_i32 s17, s16, 31
	s_lshl_b64 s[16:17], s[16:17], 1
	s_add_u32 s4, s4, s16
	s_addc_u32 s5, s5, s17
	v_add_co_u32 v1, vcc_lo, s4, v1
	v_add_co_ci_u32_e64 v2, null, s5, v2, vcc_lo
	global_load_ushort v1, v[1:2], off
	s_waitcnt vmcnt(0)
	ds_write_b16 v7, v1 offset:1280
.LBB37_14:
	s_or_b32 exec_lo, exec_lo, s20
	v_lshlrev_b32_e32 v1, 2, v0
	s_mov_b32 s4, exec_lo
	v_lshl_add_u32 v1, s6, 9, v1
	v_cmpx_gt_i32_e64 s0, v1
	s_cbranch_execz .LBB37_44
; %bb.15:
	s_abs_i32 s4, s2
	v_mov_b32_e32 v11, 0
	v_cvt_f32_u32_e32 v2, s4
	v_mov_b32_e32 v8, 0
	v_mov_b32_e32 v9, 0
	;; [unrolled: 1-line block ×4, first 2 shown]
	v_rcp_iflag_f32_e32 v2, v2
	v_mov_b32_e32 v13, 0
	v_mov_b32_e32 v14, 0
	;; [unrolled: 1-line block ×9, first 2 shown]
	v_mul_f32_e32 v2, 0x4f7ffffe, v2
	v_mov_b32_e32 v22, 0
	v_mov_b32_e32 v23, 0
	;; [unrolled: 1-line block ×4, first 2 shown]
	v_cvt_u32_f32_e32 v2, v2
	v_mov_b32_e32 v26, 0
	v_mov_b32_e32 v27, 0
	;; [unrolled: 1-line block ×4, first 2 shown]
	v_readfirstlane_b32 s5, v2
	v_mov_b32_e32 v32, 0
	v_mov_b32_e32 v31, 0
	s_cmp_ge_i32 s18, s19
	s_waitcnt lgkmcnt(0)
	s_barrier
	buffer_gl0_inv
	s_cbranch_scc1 .LBB37_20
; %bb.16:
	s_sub_i32 s6, 0, s4
	s_abs_i32 s16, s1
	s_mul_i32 s6, s6, s5
	s_ashr_i32 s1, s1, 31
	s_mul_hi_u32 s6, s5, s6
	s_ashr_i32 s2, s2, 31
	s_add_i32 s5, s5, s6
	s_xor_b32 s1, s1, s2
	s_mul_hi_u32 s5, s16, s5
	s_mov_b32 s20, 0xe400e400
	s_mul_i32 s6, s5, s4
	v_mov_b32_e32 v31, 0
	s_sub_i32 s2, s16, s6
	s_add_i32 s6, s5, 1
	s_sub_i32 s16, s2, s4
	s_cmp_ge_u32 s2, s4
	v_mov_b32_e32 v32, 0
	s_cselect_b32 s5, s6, s5
	s_cselect_b32 s2, s16, s2
	s_add_i32 s6, s5, 1
	s_cmp_ge_u32 s2, s4
	v_mov_b32_e32 v30, 0
	s_cselect_b32 s2, s6, s5
	v_mov_b32_e32 v29, 0
	s_xor_b32 s2, s2, s1
	v_mov_b32_e32 v27, 0
	s_sub_i32 s6, s2, s1
	s_bitcmp1_b32 s3, 0
	v_cvt_f32_u32_e32 v2, s6
	s_cselect_b32 s2, -1, 0
	s_sub_i32 s3, 0, s6
	s_xor_b32 s4, s2, -1
	v_mov_b32_e32 v26, 0
	v_rcp_iflag_f32_e32 v2, v2
	v_cndmask_b32_e64 v34, 0, 1, s4
	v_mov_b32_e32 v25, 0
	v_mov_b32_e32 v24, 0
	;; [unrolled: 1-line block ×8, first 2 shown]
	v_mul_f32_e32 v2, 0x4f7ffffe, v2
	v_mov_b32_e32 v17, 0
	v_mov_b32_e32 v16, 0
	;; [unrolled: 1-line block ×4, first 2 shown]
	v_cvt_u32_f32_e32 v2, v2
	v_mov_b32_e32 v13, 0
	v_mov_b32_e32 v12, 0
	;; [unrolled: 1-line block ×4, first 2 shown]
	v_readfirstlane_b32 s1, v2
	v_ashrrev_i32_e32 v2, 31, v1
	v_mov_b32_e32 v8, 0
	s_mov_b32 s17, 0
	s_mul_i32 s3, s3, s1
	v_lshrrev_b32_e32 v3, 29, v2
	s_mul_hi_u32 s3, s1, s3
	s_add_i32 s1, s1, s3
	v_add_nc_u32_e32 v3, v1, v3
	s_mul_hi_u32 s1, s18, s1
	s_mul_i32 s3, s1, s6
	s_sub_i32 s2, s18, s3
	s_add_i32 s3, s1, 1
	s_sub_i32 s5, s2, s6
	s_cmp_ge_u32 s2, s6
	v_ashrrev_i32_e32 v28, 3, v3
	s_cselect_b32 s1, s3, s1
	s_cselect_b32 s2, s5, s2
	s_add_i32 s3, s1, 1
	s_cmp_ge_u32 s2, s6
	s_cselect_b32 s16, s3, s1
	s_mul_i32 s1, s16, s0
	s_ashr_i32 s2, s1, 31
	v_add_nc_u32_e32 v5, s1, v1
	s_lshr_b32 s2, s2, 29
	s_add_i32 s2, s1, s2
	s_lshr_b32 s1, s18, 3
	s_ashr_i32 s2, s2, 3
	v_ashrrev_i32_e32 v6, 31, v5
	v_add_nc_u32_e32 v3, s2, v28
	s_mul_i32 s2, s0, s1
	s_ashr_i32 s3, s2, 31
	v_lshlrev_b64 v[5:6], 1, v[5:6]
	v_ashrrev_i32_e32 v4, 31, v3
	s_lshl_b64 s[2:3], s[2:3], 2
	s_add_u32 s2, s8, s2
	s_addc_u32 s3, s9, s3
	v_lshlrev_b64 v[3:4], 2, v[3:4]
	s_ashr_i32 s1, s0, 31
	s_add_i32 s8, s6, s18
	s_lshl_b64 s[4:5], s[0:1], 2
	s_mov_b32 s9, 0xf000f0
	v_add_co_u32 v3, vcc_lo, s10, v3
	v_add_co_ci_u32_e64 v4, null, s11, v4, vcc_lo
	v_add_co_u32 v5, vcc_lo, s12, v5
	v_add_co_ci_u32_e64 v6, null, s13, v6, vcc_lo
	global_load_dword v7, v[3:4], off
	global_load_dwordx2 v[4:5], v[5:6], off
	v_lshlrev_b32_e32 v6, 4, v0
	v_lshlrev_b64 v[2:3], 2, v[1:2]
	v_mov_b32_e32 v0, 0x10001
	v_and_b32_e32 v33, 16, v6
	v_add_co_u32 v2, vcc_lo, s2, v2
	v_add_co_ci_u32_e64 v3, null, s3, v3, vcc_lo
	s_lshl_b64 s[2:3], s[0:1], 4
	s_mov_b32 s1, 0xf000f
	s_waitcnt vmcnt(1)
	v_lshrrev_b32_e32 v6, v6, v7
	s_waitcnt vmcnt(0)
	v_cvt_f32_f16_e32 v35, v4
	v_cvt_f32_f16_sdwa v36, v4 dst_sel:DWORD dst_unused:UNUSED_PAD src0_sel:WORD_1
	v_bfe_u32 v4, v7, v33, 4
	v_cvt_f32_f16_e32 v37, v5
	v_bfe_u32 v7, v6, 12, 4
	v_bfe_u32 v11, v6, 8, 4
	;; [unrolled: 1-line block ×3, first 2 shown]
	v_add_nc_u32_e32 v4, v4, v34
	v_cvt_f32_f16_sdwa v38, v5 dst_sel:DWORD dst_unused:UNUSED_PAD src0_sel:WORD_1
	v_add_nc_u32_e32 v5, v7, v34
	v_add_nc_u32_e32 v7, v11, v34
	;; [unrolled: 1-line block ×3, first 2 shown]
	v_cvt_f32_ubyte0_e32 v11, v4
	v_mad_u32_u24 v39, 0x10001, v4, s20
	v_cvt_f32_ubyte0_e32 v4, v5
	v_cvt_f32_ubyte0_e32 v41, v7
	;; [unrolled: 1-line block ×3, first 2 shown]
	v_mad_u32_u24 v40, 0x10001, v5, s20
	v_cvt_f16_f32_e32 v5, v11
	v_cvt_f16_f32_e32 v4, v4
	;; [unrolled: 1-line block ×4, first 2 shown]
	v_mad_u32_u24 v41, 0x10001, v7, s20
	v_sub_f16_e32 v5, 0xd400, v5
	v_sub_f16_e32 v4, 0xd400, v4
	;; [unrolled: 1-line block ×4, first 2 shown]
	v_mad_u32_u24 v42, 0x10001, v6, s20
	v_mul_u32_u24_sdwa v43, v5, v0 dst_sel:DWORD dst_unused:UNUSED_PAD src0_sel:WORD_0 src1_sel:DWORD
	v_mul_u32_u24_sdwa v44, v4, v0 dst_sel:DWORD dst_unused:UNUSED_PAD src0_sel:WORD_0 src1_sel:DWORD
	v_mul_u32_u24_sdwa v45, v7, v0 dst_sel:DWORD dst_unused:UNUSED_PAD src0_sel:WORD_0 src1_sel:DWORD
	v_mul_u32_u24_sdwa v46, v11, v0 dst_sel:DWORD dst_unused:UNUSED_PAD src0_sel:WORD_0 src1_sel:DWORD
	v_mov_b32_e32 v11, 0
	s_branch .LBB37_18
.LBB37_17:                              ;   in Loop: Header=BB37_18 Depth=1
	global_load_dwordx4 v[4:7], v[2:3], off
	s_add_i32 s21, s17, 0x400
	s_add_i32 s18, s18, 32
	s_waitcnt vmcnt(0)
	v_and_or_b32 v47, v4, s1, 0x64006400
	v_and_or_b32 v48, v4, s9, 0x64006400
	v_lshrrev_b32_e32 v4, 8, v4
	v_pk_add_f16 v50, v39, v47
	v_and_or_b32 v47, v5, s9, 0x64006400
	v_and_or_b32 v49, v4, s1, 0x64006400
	v_and_or_b32 v4, v4, s9, 0x64006400
	v_pk_fma_f16 v51, 0x2c00, v48, v43 op_sel_hi:[0,1,1]
	v_pk_fma_f16 v54, 0x2c00, v47, v46 op_sel_hi:[0,1,1]
	v_pk_add_f16 v49, v39, v49
	v_pk_fma_f16 v52, 0x2c00, v4, v43 op_sel_hi:[0,1,1]
	v_and_or_b32 v4, v5, s1, 0x64006400
	v_lshrrev_b32_e32 v5, 8, v5
	v_pk_add_f16 v53, v42, v4
	v_and_or_b32 v48, v5, s1, 0x64006400
	v_and_or_b32 v5, v5, s9, 0x64006400
	;; [unrolled: 1-line block ×3, first 2 shown]
	v_pk_add_f16 v55, v42, v48
	v_pk_fma_f16 v56, 0x2c00, v5, v46 op_sel_hi:[0,1,1]
	v_and_or_b32 v5, v6, s9, 0x64006400
	v_lshrrev_b32_e32 v6, 8, v6
	v_pk_add_f16 v57, v41, v4
	v_and_or_b32 v4, v7, s1, 0x64006400
	v_pk_fma_f16 v58, 0x2c00, v5, v45 op_sel_hi:[0,1,1]
	v_and_or_b32 v47, v6, s1, 0x64006400
	v_and_or_b32 v6, v6, s9, 0x64006400
	;; [unrolled: 1-line block ×3, first 2 shown]
	v_pk_add_f16 v61, v40, v4
	v_pk_add_f16 v59, v41, v47
	v_pk_fma_f16 v60, 0x2c00, v6, v45 op_sel_hi:[0,1,1]
	v_lshrrev_b32_e32 v6, 8, v7
	v_pk_fma_f16 v62, 0x2c00, v5, v44 op_sel_hi:[0,1,1]
	v_and_or_b32 v7, v6, s1, 0x64006400
	v_and_or_b32 v6, v6, s9, 0x64006400
	v_pk_add_f16 v7, v40, v7
	v_pk_fma_f16 v63, 0x2c00, v6, v44 op_sel_hi:[0,1,1]
	v_mov_b32_e32 v6, s17
	ds_read2_b32 v[4:5], v6 offset1:1
	s_waitcnt lgkmcnt(0)
	v_pk_fma_f16 v47, v50, v4, 0
	v_pk_fma_f16 v64, v51, v5, v47
	ds_read2_b32 v[47:48], v6 offset0:2 offset1:3
	s_waitcnt lgkmcnt(0)
	v_pk_fma_f16 v64, v49, v47, v64
	v_pk_fma_f16 v64, v52, v48, v64
	v_cvt_f32_f16_e32 v65, v64
	v_cvt_f32_f16_sdwa v64, v64 dst_sel:DWORD dst_unused:UNUSED_PAD src0_sel:WORD_1
	v_add_f32_e32 v64, v65, v64
	v_fmac_f32_e32 v31, v64, v35
	v_pk_fma_f16 v64, v53, v4, 0
	v_pk_fma_f16 v64, v54, v5, v64
	v_pk_fma_f16 v64, v55, v47, v64
	v_pk_fma_f16 v64, v56, v48, v64
	v_cvt_f32_f16_e32 v65, v64
	v_cvt_f32_f16_sdwa v64, v64 dst_sel:DWORD dst_unused:UNUSED_PAD src0_sel:WORD_1
	v_add_f32_e32 v64, v65, v64
	v_fmac_f32_e32 v32, v64, v36
	v_pk_fma_f16 v64, v57, v4, 0
	v_pk_fma_f16 v4, v61, v4, 0
	v_pk_fma_f16 v64, v58, v5, v64
	v_pk_fma_f16 v4, v62, v5, v4
	v_pk_fma_f16 v64, v59, v47, v64
	v_pk_fma_f16 v4, v7, v47, v4
	v_pk_fma_f16 v64, v60, v48, v64
	v_pk_fma_f16 v4, v63, v48, v4
	v_cvt_f32_f16_e32 v65, v64
	v_cvt_f32_f16_e32 v5, v4
	v_cvt_f32_f16_sdwa v4, v4 dst_sel:DWORD dst_unused:UNUSED_PAD src0_sel:WORD_1
	v_cvt_f32_f16_sdwa v64, v64 dst_sel:DWORD dst_unused:UNUSED_PAD src0_sel:WORD_1
	v_add_f32_e32 v4, v5, v4
	v_add_f32_e32 v64, v65, v64
	v_fmac_f32_e32 v29, v4, v38
	ds_read2_b32 v[4:5], v6 offset0:64 offset1:65
	v_fmac_f32_e32 v30, v64, v37
	s_waitcnt lgkmcnt(0)
	v_pk_fma_f16 v47, v50, v4, 0
	v_pk_fma_f16 v64, v51, v5, v47
	ds_read2_b32 v[47:48], v6 offset0:66 offset1:67
	s_waitcnt lgkmcnt(0)
	v_pk_fma_f16 v64, v49, v47, v64
	v_pk_fma_f16 v64, v52, v48, v64
	v_cvt_f32_f16_e32 v65, v64
	v_cvt_f32_f16_sdwa v64, v64 dst_sel:DWORD dst_unused:UNUSED_PAD src0_sel:WORD_1
	v_add_f32_e32 v64, v65, v64
	v_fmac_f32_e32 v27, v64, v35
	v_pk_fma_f16 v64, v53, v4, 0
	v_pk_fma_f16 v64, v54, v5, v64
	v_pk_fma_f16 v64, v55, v47, v64
	v_pk_fma_f16 v64, v56, v48, v64
	v_cvt_f32_f16_e32 v65, v64
	v_cvt_f32_f16_sdwa v64, v64 dst_sel:DWORD dst_unused:UNUSED_PAD src0_sel:WORD_1
	v_add_f32_e32 v64, v65, v64
	v_fmac_f32_e32 v26, v64, v36
	v_pk_fma_f16 v64, v57, v4, 0
	v_pk_fma_f16 v4, v61, v4, 0
	v_pk_fma_f16 v64, v58, v5, v64
	v_pk_fma_f16 v4, v62, v5, v4
	v_pk_fma_f16 v64, v59, v47, v64
	v_pk_fma_f16 v4, v7, v47, v4
	v_pk_fma_f16 v64, v60, v48, v64
	v_pk_fma_f16 v4, v63, v48, v4
	v_cvt_f32_f16_e32 v65, v64
	v_cvt_f32_f16_e32 v5, v4
	v_cvt_f32_f16_sdwa v4, v4 dst_sel:DWORD dst_unused:UNUSED_PAD src0_sel:WORD_1
	v_cvt_f32_f16_sdwa v64, v64 dst_sel:DWORD dst_unused:UNUSED_PAD src0_sel:WORD_1
	v_add_f32_e32 v4, v5, v4
	v_add_f32_e32 v64, v65, v64
	v_fmac_f32_e32 v24, v4, v38
	ds_read2_b32 v[4:5], v6 offset0:128 offset1:129
	v_fmac_f32_e32 v25, v64, v37
	;; [unrolled: 36-line block ×3, first 2 shown]
	s_waitcnt lgkmcnt(0)
	v_pk_fma_f16 v47, v50, v4, 0
	v_pk_fma_f16 v64, v51, v5, v47
	ds_read2_b32 v[47:48], v6 offset0:194 offset1:195
	s_waitcnt lgkmcnt(0)
	v_pk_fma_f16 v64, v49, v47, v64
	v_pk_fma_f16 v64, v52, v48, v64
	v_cvt_f32_f16_e32 v65, v64
	v_cvt_f32_f16_sdwa v64, v64 dst_sel:DWORD dst_unused:UNUSED_PAD src0_sel:WORD_1
	v_add_f32_e32 v64, v65, v64
	v_fmac_f32_e32 v19, v64, v35
	v_pk_fma_f16 v64, v53, v4, 0
	v_pk_fma_f16 v64, v54, v5, v64
	;; [unrolled: 1-line block ×4, first 2 shown]
	v_cvt_f32_f16_e32 v65, v64
	v_cvt_f32_f16_sdwa v64, v64 dst_sel:DWORD dst_unused:UNUSED_PAD src0_sel:WORD_1
	v_add_f32_e32 v64, v65, v64
	v_fmac_f32_e32 v18, v64, v36
	v_pk_fma_f16 v64, v57, v4, 0
	v_pk_fma_f16 v4, v61, v4, 0
	;; [unrolled: 1-line block ×8, first 2 shown]
	v_cvt_f32_f16_e32 v65, v64
	v_cvt_f32_f16_e32 v5, v4
	v_cvt_f32_f16_sdwa v4, v4 dst_sel:DWORD dst_unused:UNUSED_PAD src0_sel:WORD_1
	v_cvt_f32_f16_sdwa v64, v64 dst_sel:DWORD dst_unused:UNUSED_PAD src0_sel:WORD_1
	v_add_f32_e32 v4, v5, v4
	v_add_f32_e32 v64, v65, v64
	v_fmac_f32_e32 v16, v4, v38
	v_mov_b32_e32 v4, s21
	s_add_i32 s21, s17, 0x408
	v_fmac_f32_e32 v17, v64, v37
	ds_read2_b32 v[4:5], v4 offset1:1
	s_waitcnt lgkmcnt(0)
	v_pk_fma_f16 v47, v50, v4, 0
	v_pk_fma_f16 v64, v51, v5, v47
	v_mov_b32_e32 v47, s21
	s_add_i32 s21, s17, 0x500
	ds_read2_b32 v[47:48], v47 offset1:1
	s_waitcnt lgkmcnt(0)
	v_pk_fma_f16 v64, v49, v47, v64
	v_pk_fma_f16 v64, v52, v48, v64
	v_cvt_f32_f16_e32 v65, v64
	v_cvt_f32_f16_sdwa v64, v64 dst_sel:DWORD dst_unused:UNUSED_PAD src0_sel:WORD_1
	v_add_f32_e32 v64, v65, v64
	v_fmac_f32_e32 v15, v64, v35
	v_pk_fma_f16 v64, v53, v4, 0
	v_pk_fma_f16 v64, v54, v5, v64
	v_pk_fma_f16 v64, v55, v47, v64
	v_pk_fma_f16 v64, v56, v48, v64
	v_cvt_f32_f16_e32 v65, v64
	v_cvt_f32_f16_sdwa v64, v64 dst_sel:DWORD dst_unused:UNUSED_PAD src0_sel:WORD_1
	v_add_f32_e32 v64, v65, v64
	v_fmac_f32_e32 v14, v64, v36
	v_pk_fma_f16 v64, v57, v4, 0
	v_pk_fma_f16 v4, v61, v4, 0
	;; [unrolled: 1-line block ×8, first 2 shown]
	v_cvt_f32_f16_e32 v65, v64
	v_cvt_f32_f16_e32 v5, v4
	v_cvt_f32_f16_sdwa v4, v4 dst_sel:DWORD dst_unused:UNUSED_PAD src0_sel:WORD_1
	v_cvt_f32_f16_sdwa v64, v64 dst_sel:DWORD dst_unused:UNUSED_PAD src0_sel:WORD_1
	v_add_f32_e32 v4, v5, v4
	v_add_f32_e32 v64, v65, v64
	v_fmac_f32_e32 v12, v4, v38
	v_mov_b32_e32 v4, s21
	s_add_i32 s21, s17, 0x508
	v_fmac_f32_e32 v13, v64, v37
	ds_read2_b32 v[4:5], v4 offset1:1
	s_waitcnt lgkmcnt(0)
	v_pk_fma_f16 v47, v50, v4, 0
	v_pk_fma_f16 v50, v51, v5, v47
	v_mov_b32_e32 v47, s21
	s_add_i32 s21, s17, 0x410
	ds_read2_b32 v[47:48], v47 offset1:1
	s_waitcnt lgkmcnt(0)
	v_pk_fma_f16 v49, v49, v47, v50
	v_pk_fma_f16 v49, v52, v48, v49
	v_cvt_f32_f16_e32 v50, v49
	v_cvt_f32_f16_sdwa v49, v49 dst_sel:DWORD dst_unused:UNUSED_PAD src0_sel:WORD_1
	v_add_f32_e32 v49, v50, v49
	v_fmac_f32_e32 v10, v49, v35
	v_pk_fma_f16 v49, v53, v4, 0
	v_pk_fma_f16 v49, v54, v5, v49
	;; [unrolled: 1-line block ×4, first 2 shown]
	v_cvt_f32_f16_e32 v50, v49
	v_cvt_f32_f16_sdwa v49, v49 dst_sel:DWORD dst_unused:UNUSED_PAD src0_sel:WORD_1
	v_add_f32_e32 v49, v50, v49
	v_fmac_f32_e32 v9, v49, v36
	v_pk_fma_f16 v49, v57, v4, 0
	v_pk_fma_f16 v4, v61, v4, 0
	;; [unrolled: 1-line block ×8, first 2 shown]
	v_cvt_f32_f16_e32 v50, v49
	v_cvt_f32_f16_e32 v5, v4
	v_cvt_f32_f16_sdwa v4, v4 dst_sel:DWORD dst_unused:UNUSED_PAD src0_sel:WORD_1
	v_cvt_f32_f16_sdwa v49, v49 dst_sel:DWORD dst_unused:UNUSED_PAD src0_sel:WORD_1
	v_add_f32_e32 v4, v5, v4
	v_add_f32_e32 v49, v50, v49
	v_fmac_f32_e32 v11, v4, v38
	v_add_co_u32 v4, vcc_lo, v2, s4
	v_add_co_ci_u32_e64 v5, null, s5, v3, vcc_lo
	v_fmac_f32_e32 v8, v49, v37
	global_load_dwordx4 v[49:52], v[4:5], off
	v_add_co_u32 v4, vcc_lo, v4, s4
	v_add_co_ci_u32_e64 v5, null, s5, v5, vcc_lo
	s_waitcnt vmcnt(0)
	v_lshrrev_b32_e32 v48, 8, v49
	v_and_or_b32 v7, v49, s1, 0x64006400
	v_and_or_b32 v47, v49, s9, 0x64006400
	;; [unrolled: 1-line block ×4, first 2 shown]
	v_pk_add_f16 v49, v39, v7
	v_pk_fma_f16 v48, 0x2c00, v47, v43 op_sel_hi:[0,1,1]
	v_pk_add_f16 v7, v39, v53
	v_pk_fma_f16 v47, 0x2c00, v54, v43 op_sel_hi:[0,1,1]
	v_and_or_b32 v53, v50, s1, 0x64006400
	v_and_or_b32 v54, v50, s9, 0x64006400
	v_lshrrev_b32_e32 v50, 8, v50
	v_pk_add_f16 v56, v42, v53
	v_and_or_b32 v53, v51, s9, 0x64006400
	v_and_or_b32 v55, v50, s1, 0x64006400
	;; [unrolled: 1-line block ×3, first 2 shown]
	v_pk_fma_f16 v54, 0x2c00, v54, v46 op_sel_hi:[0,1,1]
	v_pk_fma_f16 v60, 0x2c00, v53, v45 op_sel_hi:[0,1,1]
	v_pk_add_f16 v55, v42, v55
	v_pk_fma_f16 v57, 0x2c00, v50, v46 op_sel_hi:[0,1,1]
	v_and_or_b32 v50, v51, s1, 0x64006400
	v_lshrrev_b32_e32 v51, 8, v51
	v_pk_add_f16 v59, v41, v50
	v_and_or_b32 v58, v51, s1, 0x64006400
	v_and_or_b32 v51, v51, s9, 0x64006400
	v_and_or_b32 v50, v52, s1, 0x64006400
	v_pk_add_f16 v58, v41, v58
	v_pk_fma_f16 v61, 0x2c00, v51, v45 op_sel_hi:[0,1,1]
	v_and_or_b32 v51, v52, s9, 0x64006400
	v_pk_add_f16 v62, v40, v50
	v_lshrrev_b32_e32 v52, 8, v52
	v_pk_fma_f16 v63, 0x2c00, v51, v44 op_sel_hi:[0,1,1]
	ds_read2_b32 v[50:51], v6 offset0:4 offset1:5
	v_and_or_b32 v53, v52, s1, 0x64006400
	v_and_or_b32 v52, v52, s9, 0x64006400
	v_pk_add_f16 v64, v40, v53
	v_pk_fma_f16 v65, 0x2c00, v52, v44 op_sel_hi:[0,1,1]
	s_waitcnt lgkmcnt(0)
	v_pk_fma_f16 v52, v49, v50, 0
	v_pk_fma_f16 v66, v48, v51, v52
	ds_read2_b32 v[52:53], v6 offset0:6 offset1:7
	s_waitcnt lgkmcnt(0)
	v_pk_fma_f16 v66, v7, v52, v66
	v_pk_fma_f16 v66, v47, v53, v66
	v_cvt_f32_f16_e32 v67, v66
	v_cvt_f32_f16_sdwa v66, v66 dst_sel:DWORD dst_unused:UNUSED_PAD src0_sel:WORD_1
	v_add_f32_e32 v66, v67, v66
	v_fmac_f32_e32 v31, v66, v35
	v_pk_fma_f16 v66, v56, v50, 0
	v_pk_fma_f16 v66, v54, v51, v66
	v_pk_fma_f16 v66, v55, v52, v66
	v_pk_fma_f16 v66, v57, v53, v66
	v_cvt_f32_f16_e32 v67, v66
	v_cvt_f32_f16_sdwa v66, v66 dst_sel:DWORD dst_unused:UNUSED_PAD src0_sel:WORD_1
	v_add_f32_e32 v66, v67, v66
	v_fmac_f32_e32 v32, v66, v36
	v_pk_fma_f16 v66, v59, v50, 0
	v_pk_fma_f16 v50, v62, v50, 0
	v_pk_fma_f16 v66, v60, v51, v66
	v_pk_fma_f16 v50, v63, v51, v50
	v_pk_fma_f16 v66, v58, v52, v66
	v_pk_fma_f16 v50, v64, v52, v50
	v_pk_fma_f16 v66, v61, v53, v66
	v_pk_fma_f16 v50, v65, v53, v50
	v_cvt_f32_f16_e32 v67, v66
	v_cvt_f32_f16_e32 v51, v50
	v_cvt_f32_f16_sdwa v50, v50 dst_sel:DWORD dst_unused:UNUSED_PAD src0_sel:WORD_1
	v_cvt_f32_f16_sdwa v66, v66 dst_sel:DWORD dst_unused:UNUSED_PAD src0_sel:WORD_1
	v_add_f32_e32 v50, v51, v50
	v_add_f32_e32 v66, v67, v66
	v_fmac_f32_e32 v29, v50, v38
	ds_read2_b32 v[50:51], v6 offset0:68 offset1:69
	v_fmac_f32_e32 v30, v66, v37
	s_waitcnt lgkmcnt(0)
	v_pk_fma_f16 v52, v49, v50, 0
	v_pk_fma_f16 v66, v48, v51, v52
	ds_read2_b32 v[52:53], v6 offset0:70 offset1:71
	s_waitcnt lgkmcnt(0)
	v_pk_fma_f16 v66, v7, v52, v66
	v_pk_fma_f16 v66, v47, v53, v66
	v_cvt_f32_f16_e32 v67, v66
	v_cvt_f32_f16_sdwa v66, v66 dst_sel:DWORD dst_unused:UNUSED_PAD src0_sel:WORD_1
	v_add_f32_e32 v66, v67, v66
	v_fmac_f32_e32 v27, v66, v35
	v_pk_fma_f16 v66, v56, v50, 0
	v_pk_fma_f16 v66, v54, v51, v66
	v_pk_fma_f16 v66, v55, v52, v66
	v_pk_fma_f16 v66, v57, v53, v66
	v_cvt_f32_f16_e32 v67, v66
	v_cvt_f32_f16_sdwa v66, v66 dst_sel:DWORD dst_unused:UNUSED_PAD src0_sel:WORD_1
	v_add_f32_e32 v66, v67, v66
	v_fmac_f32_e32 v26, v66, v36
	v_pk_fma_f16 v66, v59, v50, 0
	v_pk_fma_f16 v50, v62, v50, 0
	v_pk_fma_f16 v66, v60, v51, v66
	v_pk_fma_f16 v50, v63, v51, v50
	v_pk_fma_f16 v66, v58, v52, v66
	v_pk_fma_f16 v50, v64, v52, v50
	v_pk_fma_f16 v66, v61, v53, v66
	v_pk_fma_f16 v50, v65, v53, v50
	v_cvt_f32_f16_e32 v67, v66
	v_cvt_f32_f16_e32 v51, v50
	v_cvt_f32_f16_sdwa v50, v50 dst_sel:DWORD dst_unused:UNUSED_PAD src0_sel:WORD_1
	v_cvt_f32_f16_sdwa v66, v66 dst_sel:DWORD dst_unused:UNUSED_PAD src0_sel:WORD_1
	v_add_f32_e32 v50, v51, v50
	v_add_f32_e32 v66, v67, v66
	v_fmac_f32_e32 v24, v50, v38
	ds_read2_b32 v[50:51], v6 offset0:132 offset1:133
	v_fmac_f32_e32 v25, v66, v37
	;; [unrolled: 36-line block ×3, first 2 shown]
	s_waitcnt lgkmcnt(0)
	v_pk_fma_f16 v52, v49, v50, 0
	v_pk_fma_f16 v66, v48, v51, v52
	ds_read2_b32 v[52:53], v6 offset0:198 offset1:199
	s_waitcnt lgkmcnt(0)
	v_pk_fma_f16 v66, v7, v52, v66
	v_pk_fma_f16 v66, v47, v53, v66
	v_cvt_f32_f16_e32 v67, v66
	v_cvt_f32_f16_sdwa v66, v66 dst_sel:DWORD dst_unused:UNUSED_PAD src0_sel:WORD_1
	v_add_f32_e32 v66, v67, v66
	v_fmac_f32_e32 v19, v66, v35
	v_pk_fma_f16 v66, v56, v50, 0
	v_pk_fma_f16 v66, v54, v51, v66
	v_pk_fma_f16 v66, v55, v52, v66
	v_pk_fma_f16 v66, v57, v53, v66
	v_cvt_f32_f16_e32 v67, v66
	v_cvt_f32_f16_sdwa v66, v66 dst_sel:DWORD dst_unused:UNUSED_PAD src0_sel:WORD_1
	v_add_f32_e32 v66, v67, v66
	v_fmac_f32_e32 v18, v66, v36
	v_pk_fma_f16 v66, v59, v50, 0
	v_pk_fma_f16 v50, v62, v50, 0
	;; [unrolled: 1-line block ×8, first 2 shown]
	v_cvt_f32_f16_e32 v67, v66
	v_cvt_f32_f16_e32 v51, v50
	v_cvt_f32_f16_sdwa v50, v50 dst_sel:DWORD dst_unused:UNUSED_PAD src0_sel:WORD_1
	v_cvt_f32_f16_sdwa v66, v66 dst_sel:DWORD dst_unused:UNUSED_PAD src0_sel:WORD_1
	v_add_f32_e32 v50, v51, v50
	v_add_f32_e32 v66, v67, v66
	v_fmac_f32_e32 v16, v50, v38
	v_mov_b32_e32 v50, s21
	s_add_i32 s21, s17, 0x418
	v_fmac_f32_e32 v17, v66, v37
	ds_read2_b32 v[50:51], v50 offset1:1
	s_waitcnt lgkmcnt(0)
	v_pk_fma_f16 v52, v49, v50, 0
	v_pk_fma_f16 v66, v48, v51, v52
	v_mov_b32_e32 v52, s21
	s_add_i32 s21, s17, 0x510
	ds_read2_b32 v[52:53], v52 offset1:1
	s_waitcnt lgkmcnt(0)
	v_pk_fma_f16 v66, v7, v52, v66
	v_pk_fma_f16 v66, v47, v53, v66
	v_cvt_f32_f16_e32 v67, v66
	v_cvt_f32_f16_sdwa v66, v66 dst_sel:DWORD dst_unused:UNUSED_PAD src0_sel:WORD_1
	v_add_f32_e32 v66, v67, v66
	v_fmac_f32_e32 v15, v66, v35
	v_pk_fma_f16 v66, v56, v50, 0
	v_pk_fma_f16 v66, v54, v51, v66
	;; [unrolled: 1-line block ×4, first 2 shown]
	v_cvt_f32_f16_e32 v67, v66
	v_cvt_f32_f16_sdwa v66, v66 dst_sel:DWORD dst_unused:UNUSED_PAD src0_sel:WORD_1
	v_add_f32_e32 v66, v67, v66
	v_fmac_f32_e32 v14, v66, v36
	v_pk_fma_f16 v66, v59, v50, 0
	v_pk_fma_f16 v50, v62, v50, 0
	;; [unrolled: 1-line block ×8, first 2 shown]
	v_cvt_f32_f16_e32 v67, v66
	v_cvt_f32_f16_e32 v51, v50
	v_cvt_f32_f16_sdwa v50, v50 dst_sel:DWORD dst_unused:UNUSED_PAD src0_sel:WORD_1
	v_cvt_f32_f16_sdwa v66, v66 dst_sel:DWORD dst_unused:UNUSED_PAD src0_sel:WORD_1
	v_add_f32_e32 v50, v51, v50
	v_add_f32_e32 v66, v67, v66
	v_fmac_f32_e32 v12, v50, v38
	v_mov_b32_e32 v50, s21
	s_add_i32 s21, s17, 0x518
	v_fmac_f32_e32 v13, v66, v37
	ds_read2_b32 v[50:51], v50 offset1:1
	s_waitcnt lgkmcnt(0)
	v_pk_fma_f16 v49, v49, v50, 0
	v_pk_fma_f16 v52, v48, v51, v49
	v_mov_b32_e32 v48, s21
	s_add_i32 s21, s17, 0x420
	ds_read2_b32 v[48:49], v48 offset1:1
	s_waitcnt lgkmcnt(0)
	v_pk_fma_f16 v7, v7, v48, v52
	v_pk_fma_f16 v7, v47, v49, v7
	v_cvt_f32_f16_e32 v47, v7
	v_cvt_f32_f16_sdwa v7, v7 dst_sel:DWORD dst_unused:UNUSED_PAD src0_sel:WORD_1
	v_add_f32_e32 v7, v47, v7
	v_fmac_f32_e32 v10, v7, v35
	v_pk_fma_f16 v7, v56, v50, 0
	v_pk_fma_f16 v7, v54, v51, v7
	v_pk_fma_f16 v7, v55, v48, v7
	v_pk_fma_f16 v7, v57, v49, v7
	v_cvt_f32_f16_e32 v47, v7
	v_cvt_f32_f16_sdwa v7, v7 dst_sel:DWORD dst_unused:UNUSED_PAD src0_sel:WORD_1
	v_add_f32_e32 v7, v47, v7
	v_fmac_f32_e32 v9, v7, v36
	v_pk_fma_f16 v7, v59, v50, 0
	v_pk_fma_f16 v7, v60, v51, v7
	;; [unrolled: 1-line block ×3, first 2 shown]
	global_load_dwordx4 v[57:60], v[4:5], off
	v_add_co_u32 v4, vcc_lo, v4, s4
	v_add_co_ci_u32_e64 v5, null, s5, v5, vcc_lo
	v_pk_fma_f16 v7, v61, v49, v7
	v_add_co_u32 v2, vcc_lo, v2, s2
	v_add_co_ci_u32_e64 v3, null, s3, v3, vcc_lo
	v_cvt_f32_f16_e32 v47, v7
	v_cvt_f32_f16_sdwa v7, v7 dst_sel:DWORD dst_unused:UNUSED_PAD src0_sel:WORD_1
	v_add_f32_e32 v7, v47, v7
	v_fmac_f32_e32 v8, v7, v37
	v_pk_fma_f16 v7, v62, v50, 0
	v_pk_fma_f16 v7, v63, v51, v7
	;; [unrolled: 1-line block ×4, first 2 shown]
	v_cvt_f32_f16_e32 v47, v7
	v_cvt_f32_f16_sdwa v7, v7 dst_sel:DWORD dst_unused:UNUSED_PAD src0_sel:WORD_1
	v_add_f32_e32 v7, v47, v7
	v_fmac_f32_e32 v11, v7, v38
	s_waitcnt vmcnt(0)
	v_lshrrev_b32_e32 v48, 8, v57
	v_and_or_b32 v7, v57, s1, 0x64006400
	v_and_or_b32 v47, v57, s9, 0x64006400
	v_lshrrev_b32_e32 v52, 8, v58
	v_lshrrev_b32_e32 v56, 8, v59
	v_and_or_b32 v50, v48, s1, 0x64006400
	v_and_or_b32 v51, v48, s9, 0x64006400
	v_pk_add_f16 v49, v39, v7
	v_pk_fma_f16 v48, 0x2c00, v47, v43 op_sel_hi:[0,1,1]
	v_and_or_b32 v53, v52, s1, 0x64006400
	v_pk_add_f16 v7, v39, v50
	v_pk_fma_f16 v47, 0x2c00, v51, v43 op_sel_hi:[0,1,1]
	v_and_or_b32 v50, v58, s1, 0x64006400
	v_and_or_b32 v51, v58, s9, 0x64006400
	;; [unrolled: 1-line block ×5, first 2 shown]
	v_pk_add_f16 v52, v42, v53
	v_and_or_b32 v55, v59, s9, 0x64006400
	v_pk_fma_f16 v53, 0x2c00, v54, v46 op_sel_hi:[0,1,1]
	v_and_or_b32 v54, v59, s1, 0x64006400
	v_pk_add_f16 v56, v41, v57
	v_pk_fma_f16 v57, 0x2c00, v58, v45 op_sel_hi:[0,1,1]
	v_and_or_b32 v58, v60, s1, 0x64006400
	v_and_or_b32 v59, v60, s9, 0x64006400
	v_lshrrev_b32_e32 v61, 8, v60
	v_pk_add_f16 v50, v42, v50
	v_pk_fma_f16 v51, 0x2c00, v51, v46 op_sel_hi:[0,1,1]
	v_pk_add_f16 v62, v40, v58
	v_pk_fma_f16 v63, 0x2c00, v59, v44 op_sel_hi:[0,1,1]
	ds_read2_b32 v[58:59], v6 offset0:8 offset1:9
	v_and_or_b32 v60, v61, s1, 0x64006400
	v_and_or_b32 v61, v61, s9, 0x64006400
	v_pk_add_f16 v54, v41, v54
	v_pk_fma_f16 v55, 0x2c00, v55, v45 op_sel_hi:[0,1,1]
	v_pk_add_f16 v64, v40, v60
	v_pk_fma_f16 v65, 0x2c00, v61, v44 op_sel_hi:[0,1,1]
	s_waitcnt lgkmcnt(0)
	v_pk_fma_f16 v60, v49, v58, 0
	v_pk_fma_f16 v66, v48, v59, v60
	ds_read2_b32 v[60:61], v6 offset0:10 offset1:11
	s_waitcnt lgkmcnt(0)
	v_pk_fma_f16 v66, v7, v60, v66
	v_pk_fma_f16 v66, v47, v61, v66
	v_cvt_f32_f16_e32 v67, v66
	v_cvt_f32_f16_sdwa v66, v66 dst_sel:DWORD dst_unused:UNUSED_PAD src0_sel:WORD_1
	v_add_f32_e32 v66, v67, v66
	v_fmac_f32_e32 v31, v66, v35
	v_pk_fma_f16 v66, v50, v58, 0
	v_pk_fma_f16 v66, v51, v59, v66
	v_pk_fma_f16 v66, v52, v60, v66
	v_pk_fma_f16 v66, v53, v61, v66
	v_cvt_f32_f16_e32 v67, v66
	v_cvt_f32_f16_sdwa v66, v66 dst_sel:DWORD dst_unused:UNUSED_PAD src0_sel:WORD_1
	v_add_f32_e32 v66, v67, v66
	v_fmac_f32_e32 v32, v66, v36
	v_pk_fma_f16 v66, v54, v58, 0
	v_pk_fma_f16 v58, v62, v58, 0
	v_pk_fma_f16 v66, v55, v59, v66
	v_pk_fma_f16 v58, v63, v59, v58
	v_pk_fma_f16 v66, v56, v60, v66
	v_pk_fma_f16 v58, v64, v60, v58
	v_pk_fma_f16 v66, v57, v61, v66
	v_pk_fma_f16 v58, v65, v61, v58
	v_cvt_f32_f16_e32 v67, v66
	v_cvt_f32_f16_e32 v59, v58
	v_cvt_f32_f16_sdwa v58, v58 dst_sel:DWORD dst_unused:UNUSED_PAD src0_sel:WORD_1
	v_cvt_f32_f16_sdwa v66, v66 dst_sel:DWORD dst_unused:UNUSED_PAD src0_sel:WORD_1
	v_add_f32_e32 v58, v59, v58
	v_add_f32_e32 v66, v67, v66
	v_fmac_f32_e32 v29, v58, v38
	ds_read2_b32 v[58:59], v6 offset0:72 offset1:73
	v_fmac_f32_e32 v30, v66, v37
	s_waitcnt lgkmcnt(0)
	v_pk_fma_f16 v60, v49, v58, 0
	v_pk_fma_f16 v66, v48, v59, v60
	ds_read2_b32 v[60:61], v6 offset0:74 offset1:75
	s_waitcnt lgkmcnt(0)
	v_pk_fma_f16 v66, v7, v60, v66
	v_pk_fma_f16 v66, v47, v61, v66
	v_cvt_f32_f16_e32 v67, v66
	v_cvt_f32_f16_sdwa v66, v66 dst_sel:DWORD dst_unused:UNUSED_PAD src0_sel:WORD_1
	v_add_f32_e32 v66, v67, v66
	v_fmac_f32_e32 v27, v66, v35
	v_pk_fma_f16 v66, v50, v58, 0
	v_pk_fma_f16 v66, v51, v59, v66
	v_pk_fma_f16 v66, v52, v60, v66
	v_pk_fma_f16 v66, v53, v61, v66
	v_cvt_f32_f16_e32 v67, v66
	v_cvt_f32_f16_sdwa v66, v66 dst_sel:DWORD dst_unused:UNUSED_PAD src0_sel:WORD_1
	v_add_f32_e32 v66, v67, v66
	v_fmac_f32_e32 v26, v66, v36
	v_pk_fma_f16 v66, v54, v58, 0
	v_pk_fma_f16 v58, v62, v58, 0
	v_pk_fma_f16 v66, v55, v59, v66
	v_pk_fma_f16 v58, v63, v59, v58
	v_pk_fma_f16 v66, v56, v60, v66
	v_pk_fma_f16 v58, v64, v60, v58
	v_pk_fma_f16 v66, v57, v61, v66
	v_pk_fma_f16 v58, v65, v61, v58
	v_cvt_f32_f16_e32 v67, v66
	v_cvt_f32_f16_e32 v59, v58
	v_cvt_f32_f16_sdwa v58, v58 dst_sel:DWORD dst_unused:UNUSED_PAD src0_sel:WORD_1
	v_cvt_f32_f16_sdwa v66, v66 dst_sel:DWORD dst_unused:UNUSED_PAD src0_sel:WORD_1
	v_add_f32_e32 v58, v59, v58
	v_add_f32_e32 v66, v67, v66
	v_fmac_f32_e32 v24, v58, v38
	ds_read2_b32 v[58:59], v6 offset0:136 offset1:137
	v_fmac_f32_e32 v25, v66, v37
	;; [unrolled: 36-line block ×3, first 2 shown]
	s_waitcnt lgkmcnt(0)
	v_pk_fma_f16 v60, v49, v58, 0
	v_pk_fma_f16 v66, v48, v59, v60
	ds_read2_b32 v[60:61], v6 offset0:202 offset1:203
	s_waitcnt lgkmcnt(0)
	v_pk_fma_f16 v66, v7, v60, v66
	v_pk_fma_f16 v66, v47, v61, v66
	v_cvt_f32_f16_e32 v67, v66
	v_cvt_f32_f16_sdwa v66, v66 dst_sel:DWORD dst_unused:UNUSED_PAD src0_sel:WORD_1
	v_add_f32_e32 v66, v67, v66
	v_fmac_f32_e32 v19, v66, v35
	v_pk_fma_f16 v66, v50, v58, 0
	v_pk_fma_f16 v66, v51, v59, v66
	;; [unrolled: 1-line block ×4, first 2 shown]
	v_cvt_f32_f16_e32 v67, v66
	v_cvt_f32_f16_sdwa v66, v66 dst_sel:DWORD dst_unused:UNUSED_PAD src0_sel:WORD_1
	v_add_f32_e32 v66, v67, v66
	v_fmac_f32_e32 v18, v66, v36
	v_pk_fma_f16 v66, v54, v58, 0
	v_pk_fma_f16 v58, v62, v58, 0
	;; [unrolled: 1-line block ×8, first 2 shown]
	v_cvt_f32_f16_e32 v67, v66
	v_cvt_f32_f16_e32 v59, v58
	v_cvt_f32_f16_sdwa v58, v58 dst_sel:DWORD dst_unused:UNUSED_PAD src0_sel:WORD_1
	v_cvt_f32_f16_sdwa v66, v66 dst_sel:DWORD dst_unused:UNUSED_PAD src0_sel:WORD_1
	v_add_f32_e32 v58, v59, v58
	v_add_f32_e32 v66, v67, v66
	v_fmac_f32_e32 v16, v58, v38
	v_mov_b32_e32 v58, s21
	s_add_i32 s21, s17, 0x428
	v_fmac_f32_e32 v17, v66, v37
	ds_read2_b32 v[58:59], v58 offset1:1
	s_waitcnt lgkmcnt(0)
	v_pk_fma_f16 v60, v49, v58, 0
	v_pk_fma_f16 v66, v48, v59, v60
	v_mov_b32_e32 v60, s21
	s_add_i32 s21, s17, 0x520
	ds_read2_b32 v[60:61], v60 offset1:1
	s_waitcnt lgkmcnt(0)
	v_pk_fma_f16 v66, v7, v60, v66
	v_pk_fma_f16 v66, v47, v61, v66
	v_cvt_f32_f16_e32 v67, v66
	v_cvt_f32_f16_sdwa v66, v66 dst_sel:DWORD dst_unused:UNUSED_PAD src0_sel:WORD_1
	v_add_f32_e32 v66, v67, v66
	v_fmac_f32_e32 v15, v66, v35
	v_pk_fma_f16 v66, v50, v58, 0
	v_pk_fma_f16 v66, v51, v59, v66
	;; [unrolled: 1-line block ×4, first 2 shown]
	v_cvt_f32_f16_e32 v67, v66
	v_cvt_f32_f16_sdwa v66, v66 dst_sel:DWORD dst_unused:UNUSED_PAD src0_sel:WORD_1
	v_add_f32_e32 v66, v67, v66
	v_fmac_f32_e32 v14, v66, v36
	v_pk_fma_f16 v66, v54, v58, 0
	v_pk_fma_f16 v58, v62, v58, 0
	;; [unrolled: 1-line block ×8, first 2 shown]
	v_cvt_f32_f16_e32 v67, v66
	v_cvt_f32_f16_e32 v59, v58
	v_cvt_f32_f16_sdwa v58, v58 dst_sel:DWORD dst_unused:UNUSED_PAD src0_sel:WORD_1
	v_cvt_f32_f16_sdwa v66, v66 dst_sel:DWORD dst_unused:UNUSED_PAD src0_sel:WORD_1
	v_add_f32_e32 v58, v59, v58
	v_add_f32_e32 v66, v67, v66
	v_fmac_f32_e32 v12, v58, v38
	v_mov_b32_e32 v58, s21
	s_add_i32 s21, s17, 0x528
	v_fmac_f32_e32 v13, v66, v37
	ds_read2_b32 v[58:59], v58 offset1:1
	s_waitcnt lgkmcnt(0)
	v_pk_fma_f16 v49, v49, v58, 0
	v_pk_fma_f16 v60, v48, v59, v49
	v_mov_b32_e32 v48, s21
	s_add_i32 s21, s17, 0x430
	ds_read2_b32 v[48:49], v48 offset1:1
	s_waitcnt lgkmcnt(0)
	v_pk_fma_f16 v7, v7, v48, v60
	v_pk_fma_f16 v7, v47, v49, v7
	v_cvt_f32_f16_e32 v47, v7
	v_cvt_f32_f16_sdwa v7, v7 dst_sel:DWORD dst_unused:UNUSED_PAD src0_sel:WORD_1
	v_add_f32_e32 v7, v47, v7
	v_fmac_f32_e32 v10, v7, v35
	v_pk_fma_f16 v7, v50, v58, 0
	v_pk_fma_f16 v7, v51, v59, v7
	v_pk_fma_f16 v7, v52, v48, v7
	v_pk_fma_f16 v7, v53, v49, v7
	v_cvt_f32_f16_e32 v47, v7
	v_cvt_f32_f16_sdwa v7, v7 dst_sel:DWORD dst_unused:UNUSED_PAD src0_sel:WORD_1
	v_add_f32_e32 v7, v47, v7
	v_fmac_f32_e32 v9, v7, v36
	v_pk_fma_f16 v7, v54, v58, 0
	v_pk_fma_f16 v7, v55, v59, v7
	;; [unrolled: 8-line block ×3, first 2 shown]
	v_pk_fma_f16 v7, v64, v48, v7
	ds_read2_b32 v[63:64], v6 offset0:14 offset1:15
	v_pk_fma_f16 v7, v65, v49, v7
	v_cvt_f32_f16_e32 v47, v7
	v_cvt_f32_f16_sdwa v7, v7 dst_sel:DWORD dst_unused:UNUSED_PAD src0_sel:WORD_1
	v_add_f32_e32 v7, v47, v7
	global_load_dwordx4 v[47:50], v[4:5], off
	v_fmac_f32_e32 v11, v7, v38
	s_waitcnt vmcnt(0)
	v_lshrrev_b32_e32 v7, 8, v47
	v_and_or_b32 v4, v47, s1, 0x64006400
	v_and_or_b32 v5, v47, s9, 0x64006400
	v_and_or_b32 v47, v7, s1, 0x64006400
	v_and_or_b32 v7, v7, s9, 0x64006400
	v_pk_add_f16 v62, v39, v4
	v_pk_fma_f16 v61, 0x2c00, v5, v43 op_sel_hi:[0,1,1]
	v_and_or_b32 v4, v48, s1, 0x64006400
	v_pk_add_f16 v59, v39, v47
	v_pk_fma_f16 v60, 0x2c00, v7, v43 op_sel_hi:[0,1,1]
	v_lshrrev_b32_e32 v7, 8, v48
	v_and_or_b32 v5, v48, s9, 0x64006400
	v_pk_add_f16 v55, v42, v4
	v_and_or_b32 v4, v49, s1, 0x64006400
	v_and_or_b32 v47, v7, s1, 0x64006400
	v_and_or_b32 v7, v7, s9, 0x64006400
	v_pk_fma_f16 v56, 0x2c00, v5, v46 op_sel_hi:[0,1,1]
	v_and_or_b32 v5, v49, s9, 0x64006400
	v_pk_add_f16 v51, v41, v4
	v_pk_add_f16 v57, v42, v47
	v_pk_fma_f16 v58, 0x2c00, v7, v46 op_sel_hi:[0,1,1]
	v_lshrrev_b32_e32 v7, 8, v49
	v_pk_fma_f16 v52, 0x2c00, v5, v45 op_sel_hi:[0,1,1]
	v_and_or_b32 v4, v50, s1, 0x64006400
	v_and_or_b32 v5, v50, s9, 0x64006400
	;; [unrolled: 1-line block ×4, first 2 shown]
	v_pk_fma_f16 v49, 0x2c00, v5, v44 op_sel_hi:[0,1,1]
	v_pk_add_f16 v53, v41, v47
	v_pk_fma_f16 v54, 0x2c00, v7, v45 op_sel_hi:[0,1,1]
	v_lshrrev_b32_e32 v7, 8, v50
	v_pk_add_f16 v50, v40, v4
	ds_read2_b32 v[4:5], v6 offset0:12 offset1:13
	v_and_or_b32 v47, v7, s1, 0x64006400
	v_and_or_b32 v7, v7, s9, 0x64006400
	v_pk_add_f16 v48, v40, v47
	v_pk_fma_f16 v47, 0x2c00, v7, v44 op_sel_hi:[0,1,1]
	s_waitcnt lgkmcnt(0)
	v_pk_fma_f16 v7, v62, v4, 0
	v_pk_fma_f16 v7, v61, v5, v7
	;; [unrolled: 1-line block ×4, first 2 shown]
	v_cvt_f32_f16_e32 v65, v7
	v_cvt_f32_f16_sdwa v7, v7 dst_sel:DWORD dst_unused:UNUSED_PAD src0_sel:WORD_1
	v_add_f32_e32 v7, v65, v7
	v_fmac_f32_e32 v31, v7, v35
	v_pk_fma_f16 v7, v55, v4, 0
	v_pk_fma_f16 v7, v56, v5, v7
	;; [unrolled: 1-line block ×4, first 2 shown]
	v_cvt_f32_f16_e32 v65, v7
	v_cvt_f32_f16_sdwa v7, v7 dst_sel:DWORD dst_unused:UNUSED_PAD src0_sel:WORD_1
	v_add_f32_e32 v7, v65, v7
	v_fmac_f32_e32 v32, v7, v36
	v_pk_fma_f16 v7, v51, v4, 0
	v_pk_fma_f16 v4, v50, v4, 0
	;; [unrolled: 1-line block ×8, first 2 shown]
	ds_read2_b32 v[63:64], v6 offset0:78 offset1:79
	v_cvt_f32_f16_e32 v65, v7
	v_cvt_f32_f16_e32 v5, v4
	v_cvt_f32_f16_sdwa v4, v4 dst_sel:DWORD dst_unused:UNUSED_PAD src0_sel:WORD_1
	v_cvt_f32_f16_sdwa v7, v7 dst_sel:DWORD dst_unused:UNUSED_PAD src0_sel:WORD_1
	v_add_f32_e32 v4, v5, v4
	v_add_f32_e32 v7, v65, v7
	v_fmac_f32_e32 v29, v4, v38
	ds_read2_b32 v[4:5], v6 offset0:76 offset1:77
	v_fmac_f32_e32 v30, v7, v37
	s_waitcnt lgkmcnt(0)
	v_pk_fma_f16 v7, v62, v4, 0
	v_pk_fma_f16 v7, v61, v5, v7
	;; [unrolled: 1-line block ×4, first 2 shown]
	v_cvt_f32_f16_e32 v65, v7
	v_cvt_f32_f16_sdwa v7, v7 dst_sel:DWORD dst_unused:UNUSED_PAD src0_sel:WORD_1
	v_add_f32_e32 v7, v65, v7
	v_fmac_f32_e32 v27, v7, v35
	v_pk_fma_f16 v7, v55, v4, 0
	v_pk_fma_f16 v7, v56, v5, v7
	;; [unrolled: 1-line block ×4, first 2 shown]
	v_cvt_f32_f16_e32 v65, v7
	v_cvt_f32_f16_sdwa v7, v7 dst_sel:DWORD dst_unused:UNUSED_PAD src0_sel:WORD_1
	v_add_f32_e32 v7, v65, v7
	v_fmac_f32_e32 v26, v7, v36
	v_pk_fma_f16 v7, v51, v4, 0
	v_pk_fma_f16 v4, v50, v4, 0
	;; [unrolled: 1-line block ×8, first 2 shown]
	ds_read2_b32 v[63:64], v6 offset0:142 offset1:143
	v_cvt_f32_f16_e32 v65, v7
	v_cvt_f32_f16_e32 v5, v4
	v_cvt_f32_f16_sdwa v4, v4 dst_sel:DWORD dst_unused:UNUSED_PAD src0_sel:WORD_1
	v_cvt_f32_f16_sdwa v7, v7 dst_sel:DWORD dst_unused:UNUSED_PAD src0_sel:WORD_1
	v_add_f32_e32 v4, v5, v4
	v_add_f32_e32 v7, v65, v7
	v_fmac_f32_e32 v24, v4, v38
	ds_read2_b32 v[4:5], v6 offset0:140 offset1:141
	v_fmac_f32_e32 v25, v7, v37
	s_waitcnt lgkmcnt(0)
	v_pk_fma_f16 v7, v62, v4, 0
	v_pk_fma_f16 v7, v61, v5, v7
	v_pk_fma_f16 v7, v59, v63, v7
	v_pk_fma_f16 v7, v60, v64, v7
	v_cvt_f32_f16_e32 v65, v7
	v_cvt_f32_f16_sdwa v7, v7 dst_sel:DWORD dst_unused:UNUSED_PAD src0_sel:WORD_1
	v_add_f32_e32 v7, v65, v7
	v_fmac_f32_e32 v23, v7, v35
	v_pk_fma_f16 v7, v55, v4, 0
	v_pk_fma_f16 v7, v56, v5, v7
	;; [unrolled: 1-line block ×4, first 2 shown]
	v_cvt_f32_f16_e32 v65, v7
	v_cvt_f32_f16_sdwa v7, v7 dst_sel:DWORD dst_unused:UNUSED_PAD src0_sel:WORD_1
	v_add_f32_e32 v7, v65, v7
	v_fmac_f32_e32 v22, v7, v36
	v_pk_fma_f16 v7, v51, v4, 0
	v_pk_fma_f16 v4, v50, v4, 0
	;; [unrolled: 1-line block ×8, first 2 shown]
	v_cvt_f32_f16_e32 v65, v7
	v_cvt_f32_f16_e32 v5, v4
	v_cvt_f32_f16_sdwa v4, v4 dst_sel:DWORD dst_unused:UNUSED_PAD src0_sel:WORD_1
	v_cvt_f32_f16_sdwa v7, v7 dst_sel:DWORD dst_unused:UNUSED_PAD src0_sel:WORD_1
	v_add_f32_e32 v4, v5, v4
	v_add_f32_e32 v7, v65, v7
	v_fmac_f32_e32 v20, v4, v38
	ds_read2_b32 v[4:5], v6 offset0:204 offset1:205
	v_fmac_f32_e32 v21, v7, v37
	s_waitcnt lgkmcnt(0)
	v_pk_fma_f16 v7, v62, v4, 0
	v_pk_fma_f16 v63, v61, v5, v7
	ds_read2_b32 v[6:7], v6 offset0:206 offset1:207
	s_waitcnt lgkmcnt(0)
	v_pk_fma_f16 v63, v59, v6, v63
	v_pk_fma_f16 v63, v60, v7, v63
	v_cvt_f32_f16_e32 v64, v63
	v_cvt_f32_f16_sdwa v63, v63 dst_sel:DWORD dst_unused:UNUSED_PAD src0_sel:WORD_1
	v_add_f32_e32 v63, v64, v63
	v_fmac_f32_e32 v19, v63, v35
	v_pk_fma_f16 v63, v55, v4, 0
	v_pk_fma_f16 v63, v56, v5, v63
	;; [unrolled: 1-line block ×4, first 2 shown]
	v_cvt_f32_f16_e32 v64, v63
	v_cvt_f32_f16_sdwa v63, v63 dst_sel:DWORD dst_unused:UNUSED_PAD src0_sel:WORD_1
	v_add_f32_e32 v63, v64, v63
	v_fmac_f32_e32 v18, v63, v36
	v_pk_fma_f16 v63, v51, v4, 0
	v_pk_fma_f16 v4, v50, v4, 0
	;; [unrolled: 1-line block ×8, first 2 shown]
	v_cvt_f32_f16_e32 v64, v63
	v_cvt_f32_f16_e32 v5, v4
	v_cvt_f32_f16_sdwa v4, v4 dst_sel:DWORD dst_unused:UNUSED_PAD src0_sel:WORD_1
	v_cvt_f32_f16_sdwa v63, v63 dst_sel:DWORD dst_unused:UNUSED_PAD src0_sel:WORD_1
	v_add_f32_e32 v4, v5, v4
	v_add_f32_e32 v63, v64, v63
	v_fmac_f32_e32 v16, v4, v38
	v_mov_b32_e32 v4, s21
	s_add_i32 s21, s17, 0x438
	v_fmac_f32_e32 v17, v63, v37
	ds_read2_b32 v[4:5], v4 offset1:1
	s_waitcnt lgkmcnt(0)
	v_pk_fma_f16 v6, v62, v4, 0
	v_pk_fma_f16 v63, v61, v5, v6
	v_mov_b32_e32 v6, s21
	s_add_i32 s21, s17, 0x530
	ds_read2_b32 v[6:7], v6 offset1:1
	s_waitcnt lgkmcnt(0)
	v_pk_fma_f16 v63, v59, v6, v63
	v_pk_fma_f16 v63, v60, v7, v63
	v_cvt_f32_f16_e32 v64, v63
	v_cvt_f32_f16_sdwa v63, v63 dst_sel:DWORD dst_unused:UNUSED_PAD src0_sel:WORD_1
	v_add_f32_e32 v63, v64, v63
	v_fmac_f32_e32 v15, v63, v35
	v_pk_fma_f16 v63, v55, v4, 0
	v_pk_fma_f16 v63, v56, v5, v63
	;; [unrolled: 1-line block ×4, first 2 shown]
	v_cvt_f32_f16_e32 v64, v63
	v_cvt_f32_f16_sdwa v63, v63 dst_sel:DWORD dst_unused:UNUSED_PAD src0_sel:WORD_1
	v_add_f32_e32 v63, v64, v63
	v_fmac_f32_e32 v14, v63, v36
	v_pk_fma_f16 v63, v51, v4, 0
	v_pk_fma_f16 v4, v50, v4, 0
	v_pk_fma_f16 v63, v52, v5, v63
	v_pk_fma_f16 v4, v49, v5, v4
	v_pk_fma_f16 v63, v53, v6, v63
	v_pk_fma_f16 v4, v48, v6, v4
	v_pk_fma_f16 v63, v54, v7, v63
	v_pk_fma_f16 v4, v47, v7, v4
	v_cvt_f32_f16_e32 v64, v63
	v_cvt_f32_f16_e32 v5, v4
	v_cvt_f32_f16_sdwa v4, v4 dst_sel:DWORD dst_unused:UNUSED_PAD src0_sel:WORD_1
	v_cvt_f32_f16_sdwa v63, v63 dst_sel:DWORD dst_unused:UNUSED_PAD src0_sel:WORD_1
	v_add_f32_e32 v4, v5, v4
	v_add_f32_e32 v63, v64, v63
	v_fmac_f32_e32 v12, v4, v38
	v_mov_b32_e32 v4, s21
	s_add_i32 s21, s17, 0x538
	v_fmac_f32_e32 v13, v63, v37
	s_add_i32 s17, s17, 64
	s_cmp_ge_i32 s18, s19
	ds_read2_b32 v[6:7], v4 offset1:1
	s_waitcnt lgkmcnt(0)
	v_pk_fma_f16 v4, v62, v6, 0
	v_pk_fma_f16 v55, v55, v6, 0
	;; [unrolled: 1-line block ×5, first 2 shown]
	v_mov_b32_e32 v4, s21
	v_pk_fma_f16 v55, v56, v7, v55
	v_pk_fma_f16 v51, v52, v7, v51
	;; [unrolled: 1-line block ×3, first 2 shown]
	ds_read2_b32 v[4:5], v4 offset1:1
	s_waitcnt lgkmcnt(0)
	v_pk_fma_f16 v59, v59, v4, v61
	v_pk_fma_f16 v55, v57, v4, v55
	;; [unrolled: 1-line block ×8, first 2 shown]
	v_cvt_f32_f16_e32 v60, v59
	v_cvt_f32_f16_sdwa v59, v59 dst_sel:DWORD dst_unused:UNUSED_PAD src0_sel:WORD_1
	v_cvt_f32_f16_e32 v56, v55
	v_cvt_f32_f16_sdwa v55, v55 dst_sel:DWORD dst_unused:UNUSED_PAD src0_sel:WORD_1
	;; [unrolled: 2-line block ×4, first 2 shown]
	v_add_f32_e32 v59, v60, v59
	v_add_f32_e32 v55, v56, v55
	;; [unrolled: 1-line block ×4, first 2 shown]
	v_fmac_f32_e32 v10, v59, v35
	v_fmac_f32_e32 v9, v55, v36
	;; [unrolled: 1-line block ×4, first 2 shown]
	s_cbranch_scc1 .LBB37_20
.LBB37_18:                              ; =>This Inner Loop Header: Depth=1
	s_cmp_lg_u32 s18, s8
	s_cbranch_scc1 .LBB37_17
; %bb.19:                               ;   in Loop: Header=BB37_18 Depth=1
	s_add_i32 s16, s16, 1
	s_add_i32 s8, s8, s6
	s_mul_i32 s21, s16, s0
	s_ashr_i32 s22, s21, 31
	v_add_nc_u32_e32 v6, s21, v1
	s_lshr_b32 s22, s22, 29
	s_add_i32 s22, s21, s22
	v_ashrrev_i32_e32 v7, 31, v6
	s_ashr_i32 s22, s22, 3
	v_add_nc_u32_e32 v4, s22, v28
	v_lshlrev_b64 v[6:7], 1, v[6:7]
	v_ashrrev_i32_e32 v5, 31, v4
	v_lshlrev_b64 v[4:5], 2, v[4:5]
	v_add_co_u32 v4, vcc_lo, s10, v4
	v_add_co_ci_u32_e64 v5, null, s11, v5, vcc_lo
	v_add_co_u32 v6, vcc_lo, s12, v6
	v_add_co_ci_u32_e64 v7, null, s13, v7, vcc_lo
	global_load_dword v37, v[4:5], off
	global_load_dwordx2 v[4:5], v[6:7], off
	s_waitcnt vmcnt(1)
	v_lshrrev_b32_e32 v6, v33, v37
	s_waitcnt vmcnt(0)
	v_cvt_f32_f16_e32 v35, v4
	v_cvt_f32_f16_sdwa v36, v4 dst_sel:DWORD dst_unused:UNUSED_PAD src0_sel:WORD_1
	v_bfe_u32 v4, v37, v33, 4
	v_cvt_f32_f16_e32 v37, v5
	v_bfe_u32 v7, v6, 4, 4
	v_bfe_u32 v39, v6, 8, 4
	v_bfe_u32 v6, v6, 12, 4
	v_add_nc_u32_e32 v4, v4, v34
	v_cvt_f32_f16_sdwa v38, v5 dst_sel:DWORD dst_unused:UNUSED_PAD src0_sel:WORD_1
	v_add_nc_u32_e32 v5, v7, v34
	v_add_nc_u32_e32 v7, v39, v34
	;; [unrolled: 1-line block ×3, first 2 shown]
	v_cvt_f32_ubyte0_e32 v40, v4
	v_mad_u32_u24 v39, 0x10001, v4, s20
	v_cvt_f32_ubyte0_e32 v4, v5
	v_cvt_f32_ubyte0_e32 v41, v7
	;; [unrolled: 1-line block ×3, first 2 shown]
	v_cvt_f16_f32_e32 v40, v40
	v_mad_u32_u24 v42, 0x10001, v5, s20
	v_cvt_f16_f32_e32 v4, v4
	v_cvt_f16_f32_e32 v5, v41
	;; [unrolled: 1-line block ×3, first 2 shown]
	v_mad_u32_u24 v41, 0x10001, v7, s20
	v_sub_f16_e32 v7, 0xd400, v40
	v_sub_f16_e32 v4, 0xd400, v4
	;; [unrolled: 1-line block ×4, first 2 shown]
	v_mad_u32_u24 v40, 0x10001, v6, s20
	v_mul_u32_u24_sdwa v43, v7, v0 dst_sel:DWORD dst_unused:UNUSED_PAD src0_sel:WORD_0 src1_sel:DWORD
	v_mul_u32_u24_sdwa v46, v4, v0 dst_sel:DWORD dst_unused:UNUSED_PAD src0_sel:WORD_0 src1_sel:DWORD
	;; [unrolled: 1-line block ×4, first 2 shown]
	s_branch .LBB37_17
.LBB37_20:
	v_mad_u64_u32 v[0:1], null, s7, s0, v[1:2]
	v_cvt_f16_f32_e32 v3, v31
	v_cvt_f16_f32_e32 v5, v32
	s_mov_b32 s1, 0
	v_pack_b32_f16 v5, v3, v5
	v_ashrrev_i32_e32 v1, 31, v0
	v_lshlrev_b64 v[1:2], 1, v[0:1]
	v_add_co_u32 v1, vcc_lo, s14, v1
	v_add_co_ci_u32_e64 v2, null, s15, v2, vcc_lo
	global_load_dword v4, v[1:2], off
.LBB37_21:                              ; =>This Inner Loop Header: Depth=1
	s_waitcnt vmcnt(0)
	v_pk_add_f16 v3, v5, v4
	global_atomic_cmpswap v3, v[1:2], v[3:4], off glc
	s_waitcnt vmcnt(0)
	v_cmp_eq_u32_e32 vcc_lo, v4, v3
	v_mov_b32_e32 v4, v3
	s_or_b32 s1, vcc_lo, s1
	s_andn2_b32 exec_lo, exec_lo, s1
	s_cbranch_execnz .LBB37_21
; %bb.22:
	s_or_b32 exec_lo, exec_lo, s1
	global_load_dword v4, v[1:2], off offset:4
	v_cvt_f16_f32_e32 v3, v30
	v_cvt_f16_f32_e32 v5, v29
	s_mov_b32 s1, 0
	v_pack_b32_f16 v5, v3, v5
.LBB37_23:                              ; =>This Inner Loop Header: Depth=1
	s_waitcnt vmcnt(0)
	v_pk_add_f16 v3, v5, v4
	global_atomic_cmpswap v3, v[1:2], v[3:4], off offset:4 glc
	s_waitcnt vmcnt(0)
	v_cmp_eq_u32_e32 vcc_lo, v4, v3
	v_mov_b32_e32 v4, v3
	s_or_b32 s1, vcc_lo, s1
	s_andn2_b32 exec_lo, exec_lo, s1
	s_cbranch_execnz .LBB37_23
; %bb.24:
	s_or_b32 exec_lo, exec_lo, s1
	v_add_nc_u32_e32 v0, s0, v0
	v_cvt_f16_f32_e32 v3, v27
	v_cvt_f16_f32_e32 v5, v26
	s_mov_b32 s1, 0
	v_ashrrev_i32_e32 v1, 31, v0
	v_pack_b32_f16 v5, v3, v5
	v_lshlrev_b64 v[1:2], 1, v[0:1]
	v_add_co_u32 v1, vcc_lo, s14, v1
	v_add_co_ci_u32_e64 v2, null, s15, v2, vcc_lo
	global_load_dword v4, v[1:2], off
.LBB37_25:                              ; =>This Inner Loop Header: Depth=1
	s_waitcnt vmcnt(0)
	v_pk_add_f16 v3, v5, v4
	global_atomic_cmpswap v3, v[1:2], v[3:4], off glc
	s_waitcnt vmcnt(0)
	v_cmp_eq_u32_e32 vcc_lo, v4, v3
	v_mov_b32_e32 v4, v3
	s_or_b32 s1, vcc_lo, s1
	s_andn2_b32 exec_lo, exec_lo, s1
	s_cbranch_execnz .LBB37_25
; %bb.26:
	s_or_b32 exec_lo, exec_lo, s1
	global_load_dword v4, v[1:2], off offset:4
	v_cvt_f16_f32_e32 v3, v25
	v_cvt_f16_f32_e32 v5, v24
	s_mov_b32 s1, 0
	v_pack_b32_f16 v5, v3, v5
.LBB37_27:                              ; =>This Inner Loop Header: Depth=1
	s_waitcnt vmcnt(0)
	v_pk_add_f16 v3, v5, v4
	global_atomic_cmpswap v3, v[1:2], v[3:4], off offset:4 glc
	s_waitcnt vmcnt(0)
	v_cmp_eq_u32_e32 vcc_lo, v4, v3
	v_mov_b32_e32 v4, v3
	s_or_b32 s1, vcc_lo, s1
	s_andn2_b32 exec_lo, exec_lo, s1
	s_cbranch_execnz .LBB37_27
; %bb.28:
	s_or_b32 exec_lo, exec_lo, s1
	v_add_nc_u32_e32 v0, s0, v0
	v_cvt_f16_f32_e32 v3, v23
	v_cvt_f16_f32_e32 v5, v22
	s_mov_b32 s1, 0
	v_ashrrev_i32_e32 v1, 31, v0
	v_pack_b32_f16 v5, v3, v5
	;; [unrolled: 39-line block ×5, first 2 shown]
	v_lshlrev_b64 v[0:1], 1, v[0:1]
	v_add_co_u32 v0, vcc_lo, s14, v0
	v_add_co_ci_u32_e64 v1, null, s15, v1, vcc_lo
	global_load_dword v3, v[0:1], off
.LBB37_41:                              ; =>This Inner Loop Header: Depth=1
	s_waitcnt vmcnt(0)
	v_pk_add_f16 v2, v4, v3
	global_atomic_cmpswap v2, v[0:1], v[2:3], off glc
	s_waitcnt vmcnt(0)
	v_cmp_eq_u32_e32 vcc_lo, v3, v2
	v_mov_b32_e32 v3, v2
	s_or_b32 s0, vcc_lo, s0
	s_andn2_b32 exec_lo, exec_lo, s0
	s_cbranch_execnz .LBB37_41
; %bb.42:
	s_or_b32 exec_lo, exec_lo, s0
	global_load_dword v3, v[0:1], off offset:4
	v_cvt_f16_f32_e32 v2, v8
	v_cvt_f16_f32_e32 v4, v11
	s_mov_b32 s0, 0
	v_pack_b32_f16 v4, v2, v4
.LBB37_43:                              ; =>This Inner Loop Header: Depth=1
	s_waitcnt vmcnt(0)
	v_pk_add_f16 v2, v4, v3
	global_atomic_cmpswap v2, v[0:1], v[2:3], off offset:4 glc
	s_waitcnt vmcnt(0)
	v_cmp_eq_u32_e32 vcc_lo, v3, v2
	v_mov_b32_e32 v3, v2
	s_or_b32 s0, vcc_lo, s0
	s_andn2_b32 exec_lo, exec_lo, s0
	s_cbranch_execnz .LBB37_43
.LBB37_44:
	s_endpgm
	.section	.rodata,"a",@progbits
	.p2align	6, 0x0
	.amdhsa_kernel _ZN4vllm4gptq33gemm_half_q_half_gptq_4bit_kernelILb1ELi6EEEvPK6__halfPKjS6_S4_PS2_iiiibPKi
		.amdhsa_group_segment_fixed_size 1536
		.amdhsa_private_segment_fixed_size 0
		.amdhsa_kernarg_size 72
		.amdhsa_user_sgpr_count 6
		.amdhsa_user_sgpr_private_segment_buffer 1
		.amdhsa_user_sgpr_dispatch_ptr 0
		.amdhsa_user_sgpr_queue_ptr 0
		.amdhsa_user_sgpr_kernarg_segment_ptr 1
		.amdhsa_user_sgpr_dispatch_id 0
		.amdhsa_user_sgpr_flat_scratch_init 0
		.amdhsa_user_sgpr_private_segment_size 0
		.amdhsa_wavefront_size32 1
		.amdhsa_uses_dynamic_stack 0
		.amdhsa_system_sgpr_private_segment_wavefront_offset 0
		.amdhsa_system_sgpr_workgroup_id_x 1
		.amdhsa_system_sgpr_workgroup_id_y 1
		.amdhsa_system_sgpr_workgroup_id_z 1
		.amdhsa_system_sgpr_workgroup_info 0
		.amdhsa_system_vgpr_workitem_id 0
		.amdhsa_next_free_vgpr 68
		.amdhsa_next_free_sgpr 24
		.amdhsa_reserve_vcc 1
		.amdhsa_reserve_flat_scratch 0
		.amdhsa_float_round_mode_32 0
		.amdhsa_float_round_mode_16_64 0
		.amdhsa_float_denorm_mode_32 3
		.amdhsa_float_denorm_mode_16_64 3
		.amdhsa_dx10_clamp 1
		.amdhsa_ieee_mode 1
		.amdhsa_fp16_overflow 0
		.amdhsa_workgroup_processor_mode 1
		.amdhsa_memory_ordered 1
		.amdhsa_forward_progress 1
		.amdhsa_shared_vgpr_count 0
		.amdhsa_exception_fp_ieee_invalid_op 0
		.amdhsa_exception_fp_denorm_src 0
		.amdhsa_exception_fp_ieee_div_zero 0
		.amdhsa_exception_fp_ieee_overflow 0
		.amdhsa_exception_fp_ieee_underflow 0
		.amdhsa_exception_fp_ieee_inexact 0
		.amdhsa_exception_int_div_zero 0
	.end_amdhsa_kernel
	.section	.text._ZN4vllm4gptq33gemm_half_q_half_gptq_4bit_kernelILb1ELi6EEEvPK6__halfPKjS6_S4_PS2_iiiibPKi,"axG",@progbits,_ZN4vllm4gptq33gemm_half_q_half_gptq_4bit_kernelILb1ELi6EEEvPK6__halfPKjS6_S4_PS2_iiiibPKi,comdat
.Lfunc_end37:
	.size	_ZN4vllm4gptq33gemm_half_q_half_gptq_4bit_kernelILb1ELi6EEEvPK6__halfPKjS6_S4_PS2_iiiibPKi, .Lfunc_end37-_ZN4vllm4gptq33gemm_half_q_half_gptq_4bit_kernelILb1ELi6EEEvPK6__halfPKjS6_S4_PS2_iiiibPKi
                                        ; -- End function
	.set _ZN4vllm4gptq33gemm_half_q_half_gptq_4bit_kernelILb1ELi6EEEvPK6__halfPKjS6_S4_PS2_iiiibPKi.num_vgpr, 68
	.set _ZN4vllm4gptq33gemm_half_q_half_gptq_4bit_kernelILb1ELi6EEEvPK6__halfPKjS6_S4_PS2_iiiibPKi.num_agpr, 0
	.set _ZN4vllm4gptq33gemm_half_q_half_gptq_4bit_kernelILb1ELi6EEEvPK6__halfPKjS6_S4_PS2_iiiibPKi.numbered_sgpr, 24
	.set _ZN4vllm4gptq33gemm_half_q_half_gptq_4bit_kernelILb1ELi6EEEvPK6__halfPKjS6_S4_PS2_iiiibPKi.num_named_barrier, 0
	.set _ZN4vllm4gptq33gemm_half_q_half_gptq_4bit_kernelILb1ELi6EEEvPK6__halfPKjS6_S4_PS2_iiiibPKi.private_seg_size, 0
	.set _ZN4vllm4gptq33gemm_half_q_half_gptq_4bit_kernelILb1ELi6EEEvPK6__halfPKjS6_S4_PS2_iiiibPKi.uses_vcc, 1
	.set _ZN4vllm4gptq33gemm_half_q_half_gptq_4bit_kernelILb1ELi6EEEvPK6__halfPKjS6_S4_PS2_iiiibPKi.uses_flat_scratch, 0
	.set _ZN4vllm4gptq33gemm_half_q_half_gptq_4bit_kernelILb1ELi6EEEvPK6__halfPKjS6_S4_PS2_iiiibPKi.has_dyn_sized_stack, 0
	.set _ZN4vllm4gptq33gemm_half_q_half_gptq_4bit_kernelILb1ELi6EEEvPK6__halfPKjS6_S4_PS2_iiiibPKi.has_recursion, 0
	.set _ZN4vllm4gptq33gemm_half_q_half_gptq_4bit_kernelILb1ELi6EEEvPK6__halfPKjS6_S4_PS2_iiiibPKi.has_indirect_call, 0
	.section	.AMDGPU.csdata,"",@progbits
; Kernel info:
; codeLenInByte = 10448
; TotalNumSgprs: 26
; NumVgprs: 68
; ScratchSize: 0
; MemoryBound: 0
; FloatMode: 240
; IeeeMode: 1
; LDSByteSize: 1536 bytes/workgroup (compile time only)
; SGPRBlocks: 0
; VGPRBlocks: 8
; NumSGPRsForWavesPerEU: 26
; NumVGPRsForWavesPerEU: 68
; Occupancy: 12
; WaveLimiterHint : 0
; COMPUTE_PGM_RSRC2:SCRATCH_EN: 0
; COMPUTE_PGM_RSRC2:USER_SGPR: 6
; COMPUTE_PGM_RSRC2:TRAP_HANDLER: 0
; COMPUTE_PGM_RSRC2:TGID_X_EN: 1
; COMPUTE_PGM_RSRC2:TGID_Y_EN: 1
; COMPUTE_PGM_RSRC2:TGID_Z_EN: 1
; COMPUTE_PGM_RSRC2:TIDIG_COMP_CNT: 0
	.section	.text._ZN4vllm4gptq33gemm_half_q_half_gptq_8bit_kernelILb1ELi6EEEvPK6__halfPKjS6_S4_PS2_iiiibPKi,"axG",@progbits,_ZN4vllm4gptq33gemm_half_q_half_gptq_8bit_kernelILb1ELi6EEEvPK6__halfPKjS6_S4_PS2_iiiibPKi,comdat
	.protected	_ZN4vllm4gptq33gemm_half_q_half_gptq_8bit_kernelILb1ELi6EEEvPK6__halfPKjS6_S4_PS2_iiiibPKi ; -- Begin function _ZN4vllm4gptq33gemm_half_q_half_gptq_8bit_kernelILb1ELi6EEEvPK6__halfPKjS6_S4_PS2_iiiibPKi
	.globl	_ZN4vllm4gptq33gemm_half_q_half_gptq_8bit_kernelILb1ELi6EEEvPK6__halfPKjS6_S4_PS2_iiiibPKi
	.p2align	8
	.type	_ZN4vllm4gptq33gemm_half_q_half_gptq_8bit_kernelILb1ELi6EEEvPK6__halfPKjS6_S4_PS2_iiiibPKi,@function
_ZN4vllm4gptq33gemm_half_q_half_gptq_8bit_kernelILb1ELi6EEEvPK6__halfPKjS6_S4_PS2_iiiibPKi: ; @_ZN4vllm4gptq33gemm_half_q_half_gptq_8bit_kernelILb1ELi6EEEvPK6__halfPKjS6_S4_PS2_iiiibPKi
; %bb.0:
	s_load_dwordx4 s[0:3], s[4:5], 0x2c
	s_lshl_b32 s18, s8, 7
	s_mul_i32 s7, s7, 6
	s_add_i32 s8, s18, 0x80
	s_mov_b32 s20, exec_lo
	v_cvt_f64_u32_e32 v[1:2], s8
	s_load_dwordx8 s[8:15], s[4:5], 0x8
	s_waitcnt lgkmcnt(0)
	v_cvt_f64_i32_e32 v[3:4], s1
	v_min_f64 v[1:2], v[1:2], v[3:4]
	v_cvt_i32_f64_e32 v2, v[1:2]
	v_add_nc_u32_e32 v1, s18, v0
	v_readfirstlane_b32 s19, v2
	v_cmpx_lt_u32_e64 v1, v2
	s_cbranch_execz .LBB38_14
; %bb.1:
	s_clause 0x1
	s_load_dwordx2 s[16:17], s[4:5], 0x40
	s_load_dwordx2 s[4:5], s[4:5], 0x0
	v_mov_b32_e32 v2, 0
	v_lshlrev_b64 v[3:4], 2, v[1:2]
	v_mov_b32_e32 v6, v2
	v_mov_b32_e32 v5, v1
	s_waitcnt lgkmcnt(0)
	v_add_co_u32 v3, vcc_lo, s16, v3
	v_add_co_ci_u32_e64 v4, null, s17, v4, vcc_lo
	s_cmp_lg_u64 s[16:17], 0
	s_cselect_b32 s21, -1, 0
	s_cmp_eq_u64 s[16:17], 0
	s_cbranch_scc1 .LBB38_3
; %bb.2:
	global_load_dword v5, v[3:4], off
	s_waitcnt vmcnt(0)
	v_ashrrev_i32_e32 v6, 31, v5
.LBB38_3:
	s_mul_i32 s16, s7, s1
	v_lshlrev_b64 v[5:6], 1, v[5:6]
	s_ashr_i32 s17, s16, 31
	v_cndmask_b32_e64 v8, 0, 1, s21
	s_lshl_b64 s[22:23], s[16:17], 1
	v_lshlrev_b32_e32 v7, 1, v0
	s_add_u32 s17, s4, s22
	s_addc_u32 s22, s5, s23
	v_add_co_u32 v5, vcc_lo, s17, v5
	v_add_co_ci_u32_e64 v6, null, s22, v6, vcc_lo
	s_andn2_b32 vcc_lo, exec_lo, s21
	global_load_ushort v9, v[5:6], off
	v_mov_b32_e32 v6, v2
	v_mov_b32_e32 v5, v1
	s_waitcnt vmcnt(0)
	ds_write_b16 v7, v9
	s_cbranch_vccnz .LBB38_5
; %bb.4:
	global_load_dword v5, v[3:4], off
	s_waitcnt vmcnt(0)
	v_ashrrev_i32_e32 v6, 31, v5
.LBB38_5:
	s_add_i32 s16, s16, s1
	v_lshlrev_b64 v[5:6], 1, v[5:6]
	s_ashr_i32 s17, s16, 31
	s_lshl_b64 s[22:23], s[16:17], 1
	s_add_u32 s17, s4, s22
	s_addc_u32 s21, s5, s23
	v_add_co_u32 v5, vcc_lo, s17, v5
	v_add_co_ci_u32_e64 v6, null, s21, v6, vcc_lo
	v_cmp_ne_u32_e32 vcc_lo, 1, v8
	global_load_ushort v9, v[5:6], off
	v_mov_b32_e32 v6, v2
	v_mov_b32_e32 v5, v1
	s_waitcnt vmcnt(0)
	ds_write_b16 v7, v9 offset:256
	s_cbranch_vccnz .LBB38_7
; %bb.6:
	global_load_dword v5, v[3:4], off
	s_waitcnt vmcnt(0)
	v_ashrrev_i32_e32 v6, 31, v5
.LBB38_7:
	s_add_i32 s16, s16, s1
	v_lshlrev_b64 v[5:6], 1, v[5:6]
	s_ashr_i32 s17, s16, 31
	s_lshl_b64 s[22:23], s[16:17], 1
	s_add_u32 s17, s4, s22
	s_addc_u32 s21, s5, s23
	v_add_co_u32 v5, vcc_lo, s17, v5
	v_add_co_ci_u32_e64 v6, null, s21, v6, vcc_lo
	v_cmp_ne_u32_e32 vcc_lo, 1, v8
	global_load_ushort v9, v[5:6], off
	v_mov_b32_e32 v6, v2
	v_mov_b32_e32 v5, v1
	s_waitcnt vmcnt(0)
	ds_write_b16 v7, v9 offset:512
	;; [unrolled: 20-line block ×3, first 2 shown]
	s_cbranch_vccnz .LBB38_11
; %bb.10:
	global_load_dword v5, v[3:4], off
	s_waitcnt vmcnt(0)
	v_ashrrev_i32_e32 v6, 31, v5
.LBB38_11:
	s_add_i32 s16, s16, s1
	v_lshlrev_b64 v[5:6], 1, v[5:6]
	s_ashr_i32 s17, s16, 31
	s_lshl_b64 s[22:23], s[16:17], 1
	s_add_u32 s17, s4, s22
	s_addc_u32 s21, s5, s23
	v_add_co_u32 v5, vcc_lo, s17, v5
	v_add_co_ci_u32_e64 v6, null, s21, v6, vcc_lo
	v_cmp_ne_u32_e32 vcc_lo, 1, v8
	global_load_ushort v5, v[5:6], off
	s_waitcnt vmcnt(0)
	ds_write_b16 v7, v5 offset:1024
	s_cbranch_vccnz .LBB38_13
; %bb.12:
	global_load_dword v1, v[3:4], off
	s_waitcnt vmcnt(0)
	v_ashrrev_i32_e32 v2, 31, v1
.LBB38_13:
	s_add_i32 s16, s16, s1
	v_lshlrev_b64 v[1:2], 1, v[1:2]
	s_ashr_i32 s17, s16, 31
	s_lshl_b64 s[16:17], s[16:17], 1
	s_add_u32 s4, s4, s16
	s_addc_u32 s5, s5, s17
	v_add_co_u32 v1, vcc_lo, s4, v1
	v_add_co_ci_u32_e64 v2, null, s5, v2, vcc_lo
	global_load_ushort v1, v[1:2], off
	s_waitcnt vmcnt(0)
	ds_write_b16 v7, v1 offset:1280
.LBB38_14:
	s_or_b32 exec_lo, exec_lo, s20
	v_lshlrev_b32_e32 v0, 2, v0
	s_mov_b32 s4, exec_lo
	v_lshl_add_u32 v16, s6, 9, v0
	v_cmpx_gt_i32_e64 s0, v16
	s_cbranch_execz .LBB38_44
; %bb.15:
	s_abs_i32 s5, s2
	v_mov_b32_e32 v15, 0
	v_cvt_f32_u32_e32 v0, s5
	v_mov_b32_e32 v14, 0
	v_mov_b32_e32 v21, 0
	;; [unrolled: 1-line block ×4, first 2 shown]
	v_rcp_iflag_f32_e32 v0, v0
	v_mov_b32_e32 v32, 0
	v_mov_b32_e32 v35, 0
	;; [unrolled: 1-line block ×7, first 2 shown]
	s_cmp_ge_i32 s18, s19
	s_mov_b32 s4, 0
	v_mul_f32_e32 v0, 0x4f7ffffe, v0
	s_waitcnt lgkmcnt(0)
	s_barrier
	buffer_gl0_inv
	v_cvt_u32_f32_e32 v0, v0
	v_readfirstlane_b32 s6, v0
	s_cbranch_scc1 .LBB38_20
; %bb.16:
	s_sub_i32 s16, 0, s5
	s_abs_i32 s17, s1
	s_mul_i32 s16, s16, s6
	s_ashr_i32 s1, s1, 31
	s_mul_hi_u32 s16, s6, s16
	s_ashr_i32 s2, s2, 31
	s_add_i32 s6, s6, s16
	s_xor_b32 s1, s1, s2
	s_mul_hi_u32 s6, s17, s6
	v_ashrrev_i32_e32 v22, 2, v16
	s_mul_i32 s16, s6, s5
	v_ashrrev_i32_e32 v17, 31, v16
	s_sub_i32 s2, s17, s16
	s_add_i32 s16, s6, 1
	s_sub_i32 s17, s2, s5
	s_cmp_ge_u32 s2, s5
	v_mov_b32_e32 v37, 0
	s_cselect_b32 s6, s16, s6
	s_cselect_b32 s2, s17, s2
	s_add_i32 s16, s6, 1
	s_cmp_ge_u32 s2, s5
	v_mov_b32_e32 v36, 0
	s_cselect_b32 s2, s16, s6
	v_mov_b32_e32 v61, 0
	s_xor_b32 s2, s2, s1
	v_mov_b32_e32 v62, 0
	s_sub_i32 s5, s2, s1
	s_bitcmp1_b32 s3, 0
	v_cvt_f32_u32_e32 v0, s5
	s_cselect_b32 s2, -1, 0
	s_sub_i32 s3, 0, s5
	s_xor_b32 s16, s2, -1
	v_mov_b32_e32 v34, 0
	v_rcp_iflag_f32_e32 v0, v0
	v_mov_b32_e32 v35, 0
	v_mov_b32_e32 v32, 0
	;; [unrolled: 1-line block ×7, first 2 shown]
	v_mul_f32_e32 v0, 0x4f7ffffe, v0
	v_cvt_u32_f32_e32 v0, v0
	v_readfirstlane_b32 s1, v0
	s_mul_i32 s3, s3, s1
	s_mul_hi_u32 s3, s1, s3
	s_add_i32 s1, s1, s3
	s_mul_hi_u32 s1, s18, s1
	s_mul_i32 s3, s1, s5
	s_sub_i32 s2, s18, s3
	s_add_i32 s3, s1, 1
	s_sub_i32 s6, s2, s5
	s_cmp_ge_u32 s2, s5
	s_cselect_b32 s1, s3, s1
	s_cselect_b32 s2, s6, s2
	s_add_i32 s3, s1, 1
	s_cmp_ge_u32 s2, s5
	s_cselect_b32 s6, s3, s1
	s_mul_i32 s1, s6, s0
	s_ashr_i32 s2, s1, 31
	v_add_nc_u32_e32 v2, s1, v16
	s_lshr_b32 s2, s2, 30
	s_add_i32 s2, s1, s2
	s_lshr_b32 s1, s18, 2
	s_ashr_i32 s2, s2, 2
	v_ashrrev_i32_e32 v3, 31, v2
	v_add_nc_u32_e32 v0, s2, v22
	s_mul_i32 s2, s0, s1
	s_ashr_i32 s3, s2, 31
	v_lshlrev_b64 v[2:3], 1, v[2:3]
	v_ashrrev_i32_e32 v1, 31, v0
	s_lshl_b64 s[2:3], s[2:3], 2
	s_add_u32 s1, s8, s2
	s_addc_u32 s2, s9, s3
	v_lshlrev_b64 v[0:1], 2, v[0:1]
	s_add_i32 s8, s5, s18
	v_add_co_u32 v0, vcc_lo, s10, v0
	v_add_co_ci_u32_e64 v1, null, s11, v1, vcc_lo
	global_load_dword v4, v[0:1], off
	v_add_co_u32 v0, vcc_lo, s12, v2
	v_add_co_ci_u32_e64 v1, null, s13, v3, vcc_lo
	global_load_dwordx2 v[18:19], v[0:1], off
	v_lshlrev_b64 v[0:1], 2, v[16:17]
	v_cndmask_b32_e64 v17, 0, 1, s16
	v_add_co_u32 v0, vcc_lo, s1, v0
	v_add_co_ci_u32_e64 v1, null, s2, v1, vcc_lo
	s_ashr_i32 s1, s0, 31
	s_lshl_b64 s[2:3], s[0:1], 2
	s_waitcnt vmcnt(1)
	v_and_b32_e32 v23, 0xff, v4
	v_bfe_u32 v24, v4, 8, 8
	v_bfe_u32 v25, v4, 16, 8
	v_lshrrev_b32_e32 v26, 24, v4
	s_branch .LBB38_18
.LBB38_17:                              ;   in Loop: Header=BB38_18 Depth=1
	global_load_dwordx4 v[4:7], v[0:1], off
	v_add_co_u32 v12, vcc_lo, v0, s2
	v_add_co_ci_u32_e64 v13, null, s3, v1, vcc_lo
	v_add_nc_u32_e32 v31, v23, v17
	v_add_nc_u32_e32 v30, v24, v17
	;; [unrolled: 1-line block ×3, first 2 shown]
	global_load_dwordx4 v[0:3], v[12:13], off
	v_add_nc_u32_e32 v28, v26, v17
	v_mov_b32_e32 v27, s4
	v_add_co_u32 v12, vcc_lo, v12, s2
	v_add_co_ci_u32_e64 v13, null, s3, v13, vcc_lo
	s_add_i32 s18, s18, 32
	s_add_i32 s4, s4, 64
	s_cmp_ge_i32 s18, s19
	s_waitcnt vmcnt(1)
	v_sub_nc_u32_sdwa v8, v4, v31 dst_sel:DWORD dst_unused:UNUSED_PAD src0_sel:BYTE_0 src1_sel:DWORD
	v_cvt_f32_i32_e32 v8, v8
	v_cvt_f16_f32_e32 v38, v8
	v_sub_nc_u32_sdwa v8, v4, v31 dst_sel:DWORD dst_unused:UNUSED_PAD src0_sel:BYTE_1 src1_sel:DWORD
	v_cvt_f32_i32_e32 v8, v8
	v_cvt_f16_f32_e32 v39, v8
	v_sub_nc_u32_sdwa v8, v4, v31 dst_sel:DWORD dst_unused:UNUSED_PAD src0_sel:BYTE_2 src1_sel:DWORD
	v_sub_nc_u32_sdwa v4, v4, v31 dst_sel:DWORD dst_unused:UNUSED_PAD src0_sel:BYTE_3 src1_sel:DWORD
	v_cvt_f32_i32_e32 v8, v8
	v_cvt_f32_i32_e32 v4, v4
	v_cvt_f16_f32_e32 v40, v8
	v_cvt_f16_f32_e32 v41, v4
	s_waitcnt vmcnt(0)
	v_sub_nc_u32_sdwa v4, v0, v31 dst_sel:DWORD dst_unused:UNUSED_PAD src0_sel:BYTE_0 src1_sel:DWORD
	v_cvt_f32_i32_e32 v4, v4
	v_cvt_f16_f32_e32 v42, v4
	v_sub_nc_u32_sdwa v4, v0, v31 dst_sel:DWORD dst_unused:UNUSED_PAD src0_sel:BYTE_1 src1_sel:DWORD
	v_cvt_f32_i32_e32 v4, v4
	v_cvt_f16_f32_e32 v43, v4
	v_sub_nc_u32_sdwa v4, v0, v31 dst_sel:DWORD dst_unused:UNUSED_PAD src0_sel:BYTE_2 src1_sel:DWORD
	v_sub_nc_u32_sdwa v0, v0, v31 dst_sel:DWORD dst_unused:UNUSED_PAD src0_sel:BYTE_3 src1_sel:DWORD
	v_cvt_f32_i32_e32 v4, v4
	v_cvt_f32_i32_e32 v0, v0
	v_cvt_f16_f32_e32 v44, v4
	v_cvt_f16_f32_e32 v45, v0
	v_sub_nc_u32_sdwa v0, v5, v30 dst_sel:DWORD dst_unused:UNUSED_PAD src0_sel:BYTE_0 src1_sel:DWORD
	v_cvt_f32_i32_e32 v0, v0
	v_cvt_f16_f32_e32 v46, v0
	v_sub_nc_u32_sdwa v0, v5, v30 dst_sel:DWORD dst_unused:UNUSED_PAD src0_sel:BYTE_1 src1_sel:DWORD
	v_cvt_f32_i32_e32 v0, v0
	v_cvt_f16_f32_e32 v47, v0
	v_sub_nc_u32_sdwa v0, v5, v30 dst_sel:DWORD dst_unused:UNUSED_PAD src0_sel:BYTE_2 src1_sel:DWORD
	v_cvt_f32_i32_e32 v0, v0
	v_cvt_f16_f32_e32 v48, v0
	v_sub_nc_u32_sdwa v0, v5, v30 dst_sel:DWORD dst_unused:UNUSED_PAD src0_sel:BYTE_3 src1_sel:DWORD
	v_cvt_f32_i32_e32 v0, v0
	v_cvt_f16_f32_e32 v49, v0
	v_sub_nc_u32_sdwa v0, v1, v30 dst_sel:DWORD dst_unused:UNUSED_PAD src0_sel:BYTE_0 src1_sel:DWORD
	v_cvt_f32_i32_e32 v0, v0
	v_cvt_f16_f32_e32 v50, v0
	v_sub_nc_u32_sdwa v0, v1, v30 dst_sel:DWORD dst_unused:UNUSED_PAD src0_sel:BYTE_1 src1_sel:DWORD
	v_cvt_f32_i32_e32 v0, v0
	v_cvt_f16_f32_e32 v51, v0
	v_sub_nc_u32_sdwa v0, v1, v30 dst_sel:DWORD dst_unused:UNUSED_PAD src0_sel:BYTE_2 src1_sel:DWORD
	v_cvt_f32_i32_e32 v0, v0
	v_cvt_f16_f32_e32 v52, v0
	v_sub_nc_u32_sdwa v0, v1, v30 dst_sel:DWORD dst_unused:UNUSED_PAD src0_sel:BYTE_3 src1_sel:DWORD
	v_cvt_f32_i32_e32 v0, v0
	;; [unrolled: 12-line block ×6, first 2 shown]
	v_cvt_f16_f32_e32 v88, v0
	ds_read_b128 v[68:71], v27
	ds_read_b128 v[8:11], v27 offset:16
	ds_read_b128 v[4:7], v27 offset:32
	;; [unrolled: 1-line block ×5, first 2 shown]
	s_waitcnt lgkmcnt(5)
	v_fma_mix_f32 v72, v38, v68, 0 op_sel_hi:[1,1,0]
	v_fma_mix_f32 v72, v39, v68, v72 op_sel:[0,1,0] op_sel_hi:[1,1,0]
	v_fma_mix_f32 v72, v40, v69, v72 op_sel_hi:[1,1,0]
	v_fma_mix_f32 v72, v41, v69, v72 op_sel:[0,1,0] op_sel_hi:[1,1,0]
	;; [unrolled: 2-line block ×4, first 2 shown]
	v_fma_mixlo_f16 v72, v72, v18, 0 op_sel_hi:[0,1,0]
	v_add_f16_e32 v87, v15, v72
	v_fma_mix_f32 v72, v46, v68, 0 op_sel_hi:[1,1,0]
	v_fma_mix_f32 v72, v47, v68, v72 op_sel:[0,1,0] op_sel_hi:[1,1,0]
	v_fma_mix_f32 v72, v48, v69, v72 op_sel_hi:[1,1,0]
	v_fma_mix_f32 v72, v49, v69, v72 op_sel:[0,1,0] op_sel_hi:[1,1,0]
	;; [unrolled: 2-line block ×4, first 2 shown]
	v_fma_mixlo_f16 v72, v72, v18, 0 op_sel:[0,1,0] op_sel_hi:[0,1,0]
	v_add_f16_sdwa v89, v15, v72 dst_sel:DWORD dst_unused:UNUSED_PAD src0_sel:WORD_1 src1_sel:DWORD
	v_fma_mix_f32 v15, v54, v68, 0 op_sel_hi:[1,1,0]
	v_fma_mix_f32 v15, v55, v68, v15 op_sel:[0,1,0] op_sel_hi:[1,1,0]
	v_fma_mix_f32 v15, v56, v69, v15 op_sel_hi:[1,1,0]
	v_fma_mix_f32 v15, v57, v69, v15 op_sel:[0,1,0] op_sel_hi:[1,1,0]
	;; [unrolled: 2-line block ×4, first 2 shown]
	v_fma_mixlo_f16 v15, v15, v19, 0 op_sel_hi:[0,1,0]
	v_add_f16_e32 v90, v14, v15
	v_fma_mix_f32 v15, v64, v68, 0 op_sel_hi:[1,1,0]
	v_fma_mix_f32 v15, v65, v68, v15 op_sel:[0,1,0] op_sel_hi:[1,1,0]
	v_fma_mix_f32 v15, v66, v69, v15 op_sel_hi:[1,1,0]
	v_fma_mix_f32 v15, v67, v69, v15 op_sel:[0,1,0] op_sel_hi:[1,1,0]
	;; [unrolled: 2-line block ×4, first 2 shown]
	ds_read_b128 v[71:74], v27 offset:256
	v_fma_mixlo_f16 v15, v15, v19, 0 op_sel:[0,1,0] op_sel_hi:[0,1,0]
	v_add_f16_sdwa v91, v14, v15 dst_sel:DWORD dst_unused:UNUSED_PAD src0_sel:WORD_1 src1_sel:DWORD
	s_waitcnt lgkmcnt(0)
	v_fma_mix_f32 v14, v38, v71, 0 op_sel_hi:[1,1,0]
	v_fma_mix_f32 v14, v39, v71, v14 op_sel:[0,1,0] op_sel_hi:[1,1,0]
	v_fma_mix_f32 v14, v40, v72, v14 op_sel_hi:[1,1,0]
	v_fma_mix_f32 v14, v41, v72, v14 op_sel:[0,1,0] op_sel_hi:[1,1,0]
	v_fma_mix_f32 v14, v42, v73, v14 op_sel_hi:[1,1,0]
	v_fma_mix_f32 v14, v43, v73, v14 op_sel:[0,1,0] op_sel_hi:[1,1,0]
	v_fma_mix_f32 v14, v44, v74, v14 op_sel_hi:[1,1,0]
	v_fma_mix_f32 v14, v45, v74, v14 op_sel:[0,1,0] op_sel_hi:[1,1,0]
	v_fma_mixlo_f16 v14, v14, v18, 0 op_sel_hi:[0,1,0]
	v_add_f16_e32 v68, v21, v14
	v_fma_mix_f32 v14, v46, v71, 0 op_sel_hi:[1,1,0]
	v_fma_mix_f32 v14, v47, v71, v14 op_sel:[0,1,0] op_sel_hi:[1,1,0]
	v_fma_mix_f32 v14, v48, v72, v14 op_sel_hi:[1,1,0]
	v_fma_mix_f32 v14, v49, v72, v14 op_sel:[0,1,0] op_sel_hi:[1,1,0]
	v_fma_mix_f32 v14, v50, v73, v14 op_sel_hi:[1,1,0]
	v_fma_mix_f32 v14, v51, v73, v14 op_sel:[0,1,0] op_sel_hi:[1,1,0]
	v_fma_mix_f32 v14, v52, v74, v14 op_sel_hi:[1,1,0]
	v_fma_mix_f32 v14, v53, v74, v14 op_sel:[0,1,0] op_sel_hi:[1,1,0]
	v_fma_mixlo_f16 v14, v14, v18, 0 op_sel:[0,1,0] op_sel_hi:[0,1,0]
	v_add_f16_sdwa v69, v21, v14 dst_sel:DWORD dst_unused:UNUSED_PAD src0_sel:WORD_1 src1_sel:DWORD
	v_fma_mix_f32 v14, v54, v71, 0 op_sel_hi:[1,1,0]
	v_fma_mix_f32 v14, v55, v71, v14 op_sel:[0,1,0] op_sel_hi:[1,1,0]
	v_fma_mix_f32 v14, v56, v72, v14 op_sel_hi:[1,1,0]
	v_fma_mix_f32 v14, v57, v72, v14 op_sel:[0,1,0] op_sel_hi:[1,1,0]
	v_fma_mix_f32 v14, v58, v73, v14 op_sel_hi:[1,1,0]
	v_fma_mix_f32 v14, v59, v73, v14 op_sel:[0,1,0] op_sel_hi:[1,1,0]
	v_fma_mix_f32 v14, v60, v74, v14 op_sel_hi:[1,1,0]
	v_fma_mix_f32 v14, v63, v74, v14 op_sel:[0,1,0] op_sel_hi:[1,1,0]
	v_fma_mixlo_f16 v14, v14, v19, 0 op_sel_hi:[0,1,0]
	v_add_f16_e32 v70, v20, v14
	v_fma_mix_f32 v14, v64, v71, 0 op_sel_hi:[1,1,0]
	v_fma_mix_f32 v14, v65, v71, v14 op_sel:[0,1,0] op_sel_hi:[1,1,0]
	v_fma_mix_f32 v14, v66, v72, v14 op_sel_hi:[1,1,0]
	v_fma_mix_f32 v14, v67, v72, v14 op_sel:[0,1,0] op_sel_hi:[1,1,0]
	v_fma_mix_f32 v14, v84, v73, v14 op_sel_hi:[1,1,0]
	v_fma_mix_f32 v14, v85, v73, v14 op_sel:[0,1,0] op_sel_hi:[1,1,0]
	v_fma_mix_f32 v14, v86, v74, v14 op_sel_hi:[1,1,0]
	v_fma_mix_f32 v14, v88, v74, v14 op_sel:[0,1,0] op_sel_hi:[1,1,0]
	v_fma_mixlo_f16 v14, v14, v19, 0 op_sel:[0,1,0] op_sel_hi:[0,1,0]
	v_add_f16_sdwa v71, v20, v14 dst_sel:DWORD dst_unused:UNUSED_PAD src0_sel:WORD_1 src1_sel:DWORD
	;; [unrolled: 20-line block ×6, first 2 shown]
	ds_read_b128 v[32:35], v27 offset:1024
	s_waitcnt lgkmcnt(0)
	v_fma_mix_f32 v14, v38, v32, 0 op_sel_hi:[1,1,0]
	v_fma_mix_f32 v14, v39, v32, v14 op_sel:[0,1,0] op_sel_hi:[1,1,0]
	v_fma_mix_f32 v14, v40, v33, v14 op_sel_hi:[1,1,0]
	v_fma_mix_f32 v14, v41, v33, v14 op_sel:[0,1,0] op_sel_hi:[1,1,0]
	;; [unrolled: 2-line block ×4, first 2 shown]
	v_fma_mixlo_f16 v14, v14, v18, 0 op_sel_hi:[0,1,0]
	v_add_f16_e32 v80, v62, v14
	v_fma_mix_f32 v14, v46, v32, 0 op_sel_hi:[1,1,0]
	v_fma_mix_f32 v14, v47, v32, v14 op_sel:[0,1,0] op_sel_hi:[1,1,0]
	v_fma_mix_f32 v14, v48, v33, v14 op_sel_hi:[1,1,0]
	v_fma_mix_f32 v14, v49, v33, v14 op_sel:[0,1,0] op_sel_hi:[1,1,0]
	;; [unrolled: 2-line block ×4, first 2 shown]
	v_fma_mixlo_f16 v14, v14, v18, 0 op_sel:[0,1,0] op_sel_hi:[0,1,0]
	v_add_f16_sdwa v81, v62, v14 dst_sel:DWORD dst_unused:UNUSED_PAD src0_sel:WORD_1 src1_sel:DWORD
	v_fma_mix_f32 v14, v54, v32, 0 op_sel_hi:[1,1,0]
	v_fma_mix_f32 v14, v55, v32, v14 op_sel:[0,1,0] op_sel_hi:[1,1,0]
	v_fma_mix_f32 v14, v56, v33, v14 op_sel_hi:[1,1,0]
	v_fma_mix_f32 v14, v57, v33, v14 op_sel:[0,1,0] op_sel_hi:[1,1,0]
	;; [unrolled: 2-line block ×4, first 2 shown]
	v_fma_mixlo_f16 v14, v14, v19, 0 op_sel_hi:[0,1,0]
	v_add_f16_e32 v82, v61, v14
	v_fma_mix_f32 v14, v64, v32, 0 op_sel_hi:[1,1,0]
	v_fma_mix_f32 v14, v65, v32, v14 op_sel:[0,1,0] op_sel_hi:[1,1,0]
	v_fma_mix_f32 v14, v66, v33, v14 op_sel_hi:[1,1,0]
	v_fma_mix_f32 v14, v67, v33, v14 op_sel:[0,1,0] op_sel_hi:[1,1,0]
	;; [unrolled: 2-line block ×4, first 2 shown]
	ds_read_b128 v[32:35], v27 offset:1280
	v_fma_mixlo_f16 v14, v14, v19, 0 op_sel:[0,1,0] op_sel_hi:[0,1,0]
	v_add_f16_sdwa v83, v61, v14 dst_sel:DWORD dst_unused:UNUSED_PAD src0_sel:WORD_1 src1_sel:DWORD
	s_waitcnt lgkmcnt(0)
	v_fma_mix_f32 v14, v38, v32, 0 op_sel_hi:[1,1,0]
	v_fma_mix_f32 v14, v39, v32, v14 op_sel:[0,1,0] op_sel_hi:[1,1,0]
	v_fma_mix_f32 v14, v40, v33, v14 op_sel_hi:[1,1,0]
	v_fma_mix_f32 v14, v41, v33, v14 op_sel:[0,1,0] op_sel_hi:[1,1,0]
	;; [unrolled: 2-line block ×4, first 2 shown]
	v_fma_mixlo_f16 v14, v14, v18, 0 op_sel_hi:[0,1,0]
	v_add_f16_e32 v39, v36, v14
	v_fma_mix_f32 v14, v46, v32, 0 op_sel_hi:[1,1,0]
	v_fma_mix_f32 v14, v47, v32, v14 op_sel:[0,1,0] op_sel_hi:[1,1,0]
	v_fma_mix_f32 v14, v48, v33, v14 op_sel_hi:[1,1,0]
	v_fma_mix_f32 v14, v49, v33, v14 op_sel:[0,1,0] op_sel_hi:[1,1,0]
	;; [unrolled: 2-line block ×4, first 2 shown]
	v_fma_mixlo_f16 v14, v14, v18, 0 op_sel:[0,1,0] op_sel_hi:[0,1,0]
	v_add_f16_sdwa v20, v36, v14 dst_sel:DWORD dst_unused:UNUSED_PAD src0_sel:WORD_1 src1_sel:DWORD
	v_fma_mix_f32 v14, v54, v32, 0 op_sel_hi:[1,1,0]
	v_fma_mix_f32 v14, v55, v32, v14 op_sel:[0,1,0] op_sel_hi:[1,1,0]
	v_fma_mix_f32 v14, v56, v33, v14 op_sel_hi:[1,1,0]
	v_fma_mix_f32 v14, v57, v33, v14 op_sel:[0,1,0] op_sel_hi:[1,1,0]
	;; [unrolled: 2-line block ×4, first 2 shown]
	v_fma_mixlo_f16 v14, v14, v19, 0 op_sel_hi:[0,1,0]
	v_add_f16_e32 v15, v37, v14
	v_fma_mix_f32 v14, v64, v32, 0 op_sel_hi:[1,1,0]
	v_fma_mix_f32 v14, v65, v32, v14 op_sel:[0,1,0] op_sel_hi:[1,1,0]
	v_fma_mix_f32 v14, v66, v33, v14 op_sel_hi:[1,1,0]
	v_fma_mix_f32 v14, v67, v33, v14 op_sel:[0,1,0] op_sel_hi:[1,1,0]
	;; [unrolled: 2-line block ×4, first 2 shown]
	global_load_dwordx4 v[32:35], v[12:13], off
	v_add_co_u32 v12, vcc_lo, v12, s2
	v_add_co_ci_u32_e64 v13, null, s3, v13, vcc_lo
	v_fma_mixlo_f16 v14, v14, v19, 0 op_sel:[0,1,0] op_sel_hi:[0,1,0]
	global_load_dwordx4 v[92:95], v[12:13], off
	v_add_f16_sdwa v14, v37, v14 dst_sel:DWORD dst_unused:UNUSED_PAD src0_sel:WORD_1 src1_sel:DWORD
	s_waitcnt vmcnt(1)
	v_sub_nc_u32_sdwa v21, v32, v31 dst_sel:DWORD dst_unused:UNUSED_PAD src0_sel:BYTE_0 src1_sel:DWORD
	v_cvt_f32_i32_e32 v21, v21
	v_cvt_f16_f32_e32 v57, v21
	v_sub_nc_u32_sdwa v21, v32, v31 dst_sel:DWORD dst_unused:UNUSED_PAD src0_sel:BYTE_1 src1_sel:DWORD
	v_cvt_f32_i32_e32 v21, v21
	v_cvt_f16_f32_e32 v59, v21
	v_sub_nc_u32_sdwa v21, v32, v31 dst_sel:DWORD dst_unused:UNUSED_PAD src0_sel:BYTE_2 src1_sel:DWORD
	v_cvt_f32_i32_e32 v21, v21
	v_cvt_f16_f32_e32 v61, v21
	v_sub_nc_u32_sdwa v21, v32, v31 dst_sel:DWORD dst_unused:UNUSED_PAD src0_sel:BYTE_3 src1_sel:DWORD
	v_fma_mix_f32 v32, v57, v8, 0 op_sel_hi:[1,1,0]
	v_cvt_f32_i32_e32 v21, v21
	v_fma_mix_f32 v32, v59, v8, v32 op_sel:[0,1,0] op_sel_hi:[1,1,0]
	v_cvt_f16_f32_e32 v63, v21
	s_waitcnt vmcnt(0)
	v_sub_nc_u32_sdwa v21, v92, v31 dst_sel:DWORD dst_unused:UNUSED_PAD src0_sel:BYTE_0 src1_sel:DWORD
	v_fma_mix_f32 v32, v61, v9, v32 op_sel_hi:[1,1,0]
	v_cvt_f32_i32_e32 v21, v21
	v_fma_mix_f32 v32, v63, v9, v32 op_sel:[0,1,0] op_sel_hi:[1,1,0]
	v_cvt_f16_f32_e32 v64, v21
	v_sub_nc_u32_sdwa v21, v92, v31 dst_sel:DWORD dst_unused:UNUSED_PAD src0_sel:BYTE_1 src1_sel:DWORD
	v_fma_mix_f32 v32, v64, v10, v32 op_sel_hi:[1,1,0]
	v_cvt_f32_i32_e32 v21, v21
	v_cvt_f16_f32_e32 v65, v21
	v_sub_nc_u32_sdwa v21, v92, v31 dst_sel:DWORD dst_unused:UNUSED_PAD src0_sel:BYTE_2 src1_sel:DWORD
	v_fma_mix_f32 v32, v65, v10, v32 op_sel:[0,1,0] op_sel_hi:[1,1,0]
	v_cvt_f32_i32_e32 v21, v21
	v_cvt_f16_f32_e32 v66, v21
	v_sub_nc_u32_sdwa v21, v92, v31 dst_sel:DWORD dst_unused:UNUSED_PAD src0_sel:BYTE_3 src1_sel:DWORD
	v_fma_mix_f32 v32, v66, v11, v32 op_sel_hi:[1,1,0]
	v_cvt_f32_i32_e32 v21, v21
	v_cvt_f16_f32_e32 v67, v21
	v_sub_nc_u32_sdwa v21, v33, v30 dst_sel:DWORD dst_unused:UNUSED_PAD src0_sel:BYTE_0 src1_sel:DWORD
	v_fma_mix_f32 v32, v67, v11, v32 op_sel:[0,1,0] op_sel_hi:[1,1,0]
	v_cvt_f32_i32_e32 v21, v21
	v_fma_mixlo_f16 v32, v32, v18, 0 op_sel_hi:[0,1,0]
	v_cvt_f16_f32_e32 v49, v21
	v_sub_nc_u32_sdwa v21, v33, v30 dst_sel:DWORD dst_unused:UNUSED_PAD src0_sel:BYTE_1 src1_sel:DWORD
	v_cvt_f32_i32_e32 v21, v21
	v_cvt_f16_f32_e32 v51, v21
	v_sub_nc_u32_sdwa v21, v33, v30 dst_sel:DWORD dst_unused:UNUSED_PAD src0_sel:BYTE_2 src1_sel:DWORD
	v_cvt_f32_i32_e32 v21, v21
	v_cvt_f16_f32_e32 v53, v21
	v_sub_nc_u32_sdwa v21, v33, v30 dst_sel:DWORD dst_unused:UNUSED_PAD src0_sel:BYTE_3 src1_sel:DWORD
	v_cvt_f32_i32_e32 v21, v21
	v_cvt_f16_f32_e32 v55, v21
	v_sub_nc_u32_sdwa v21, v93, v30 dst_sel:DWORD dst_unused:UNUSED_PAD src0_sel:BYTE_0 src1_sel:DWORD
	v_cvt_f32_i32_e32 v21, v21
	v_cvt_f16_f32_e32 v56, v21
	v_sub_nc_u32_sdwa v21, v93, v30 dst_sel:DWORD dst_unused:UNUSED_PAD src0_sel:BYTE_1 src1_sel:DWORD
	v_cvt_f32_i32_e32 v21, v21
	v_cvt_f16_f32_e32 v58, v21
	v_sub_nc_u32_sdwa v21, v93, v30 dst_sel:DWORD dst_unused:UNUSED_PAD src0_sel:BYTE_2 src1_sel:DWORD
	v_cvt_f32_i32_e32 v21, v21
	v_cvt_f16_f32_e32 v60, v21
	v_sub_nc_u32_sdwa v21, v93, v30 dst_sel:DWORD dst_unused:UNUSED_PAD src0_sel:BYTE_3 src1_sel:DWORD
	v_cvt_f32_i32_e32 v21, v21
	v_cvt_f16_f32_e32 v62, v21
	v_sub_nc_u32_sdwa v21, v34, v29 dst_sel:DWORD dst_unused:UNUSED_PAD src0_sel:BYTE_0 src1_sel:DWORD
	v_cvt_f32_i32_e32 v21, v21
	;; [unrolled: 12-line block ×4, first 2 shown]
	v_cvt_f16_f32_e32 v42, v21
	v_sub_nc_u32_sdwa v21, v35, v28 dst_sel:DWORD dst_unused:UNUSED_PAD src0_sel:BYTE_1 src1_sel:DWORD
	v_cvt_f32_i32_e32 v21, v21
	v_cvt_f16_f32_e32 v43, v21
	v_sub_nc_u32_sdwa v21, v35, v28 dst_sel:DWORD dst_unused:UNUSED_PAD src0_sel:BYTE_2 src1_sel:DWORD
	v_cvt_f32_i32_e32 v21, v21
	v_cvt_f16_f32_e32 v41, v21
	v_sub_nc_u32_sdwa v21, v35, v28 dst_sel:DWORD dst_unused:UNUSED_PAD src0_sel:BYTE_3 src1_sel:DWORD
	v_add_f16_e32 v35, v87, v32
	v_fma_mix_f32 v32, v49, v8, 0 op_sel_hi:[1,1,0]
	v_cvt_f32_i32_e32 v21, v21
	v_fma_mix_f32 v32, v51, v8, v32 op_sel:[0,1,0] op_sel_hi:[1,1,0]
	v_cvt_f16_f32_e32 v40, v21
	v_sub_nc_u32_sdwa v21, v95, v28 dst_sel:DWORD dst_unused:UNUSED_PAD src0_sel:BYTE_0 src1_sel:DWORD
	v_fma_mix_f32 v32, v53, v9, v32 op_sel_hi:[1,1,0]
	v_cvt_f32_i32_e32 v21, v21
	v_fma_mix_f32 v32, v55, v9, v32 op_sel:[0,1,0] op_sel_hi:[1,1,0]
	v_cvt_f16_f32_e32 v38, v21
	v_fma_mix_f32 v32, v56, v10, v32 op_sel_hi:[1,1,0]
	v_sub_nc_u32_sdwa v21, v95, v28 dst_sel:DWORD dst_unused:UNUSED_PAD src0_sel:BYTE_1 src1_sel:DWORD
	v_fma_mix_f32 v32, v58, v10, v32 op_sel:[0,1,0] op_sel_hi:[1,1,0]
	v_cvt_f32_i32_e32 v21, v21
	v_fma_mix_f32 v32, v60, v11, v32 op_sel_hi:[1,1,0]
	v_cvt_f16_f32_e32 v37, v21
	v_sub_nc_u32_sdwa v21, v95, v28 dst_sel:DWORD dst_unused:UNUSED_PAD src0_sel:BYTE_2 src1_sel:DWORD
	v_fma_mix_f32 v32, v62, v11, v32 op_sel:[0,1,0] op_sel_hi:[1,1,0]
	v_cvt_f32_i32_e32 v21, v21
	v_fma_mixlo_f16 v32, v32, v18, 0 op_sel:[0,1,0] op_sel_hi:[0,1,0]
	v_cvt_f16_f32_e32 v36, v21
	v_sub_nc_u32_sdwa v21, v95, v28 dst_sel:DWORD dst_unused:UNUSED_PAD src0_sel:BYTE_3 src1_sel:DWORD
	v_add_f16_e32 v34, v89, v32
	v_fma_mix_f32 v32, v44, v8, 0 op_sel_hi:[1,1,0]
	v_cvt_f32_i32_e32 v21, v21
	v_fma_mix_f32 v32, v45, v8, v32 op_sel:[0,1,0] op_sel_hi:[1,1,0]
	v_cvt_f16_f32_e32 v21, v21
	v_fma_mix_f32 v32, v46, v9, v32 op_sel_hi:[1,1,0]
	v_fma_mix_f32 v32, v47, v9, v32 op_sel:[0,1,0] op_sel_hi:[1,1,0]
	v_fma_mix_f32 v32, v48, v10, v32 op_sel_hi:[1,1,0]
	v_fma_mix_f32 v32, v50, v10, v32 op_sel:[0,1,0] op_sel_hi:[1,1,0]
	v_fma_mix_f32 v32, v52, v11, v32 op_sel_hi:[1,1,0]
	v_fma_mix_f32 v32, v54, v11, v32 op_sel:[0,1,0] op_sel_hi:[1,1,0]
	v_fma_mixlo_f16 v32, v32, v19, 0 op_sel_hi:[0,1,0]
	v_add_f16_e32 v33, v90, v32
	v_fma_mix_f32 v32, v42, v8, 0 op_sel_hi:[1,1,0]
	v_fma_mix_f32 v8, v43, v8, v32 op_sel:[0,1,0] op_sel_hi:[1,1,0]
	v_fma_mix_f32 v8, v41, v9, v8 op_sel_hi:[1,1,0]
	v_fma_mix_f32 v8, v40, v9, v8 op_sel:[0,1,0] op_sel_hi:[1,1,0]
	v_fma_mix_f32 v8, v38, v10, v8 op_sel_hi:[1,1,0]
	v_fma_mix_f32 v8, v37, v10, v8 op_sel:[0,1,0] op_sel_hi:[1,1,0]
	v_fma_mix_f32 v8, v36, v11, v8 op_sel_hi:[1,1,0]
	v_fma_mix_f32 v8, v21, v11, v8 op_sel:[0,1,0] op_sel_hi:[1,1,0]
	v_fma_mixlo_f16 v8, v8, v19, 0 op_sel:[0,1,0] op_sel_hi:[0,1,0]
	v_add_f16_e32 v32, v91, v8
	ds_read_b128 v[8:11], v27 offset:272
	s_waitcnt lgkmcnt(0)
	v_fma_mix_f32 v84, v57, v8, 0 op_sel_hi:[1,1,0]
	v_fma_mix_f32 v84, v59, v8, v84 op_sel:[0,1,0] op_sel_hi:[1,1,0]
	v_fma_mix_f32 v84, v61, v9, v84 op_sel_hi:[1,1,0]
	v_fma_mix_f32 v84, v63, v9, v84 op_sel:[0,1,0] op_sel_hi:[1,1,0]
	v_fma_mix_f32 v84, v64, v10, v84 op_sel_hi:[1,1,0]
	v_fma_mix_f32 v84, v65, v10, v84 op_sel:[0,1,0] op_sel_hi:[1,1,0]
	v_fma_mix_f32 v84, v66, v11, v84 op_sel_hi:[1,1,0]
	v_fma_mix_f32 v84, v67, v11, v84 op_sel:[0,1,0] op_sel_hi:[1,1,0]
	v_fma_mixlo_f16 v84, v84, v18, 0 op_sel_hi:[0,1,0]
	v_add_f16_e32 v68, v68, v84
	v_fma_mix_f32 v84, v49, v8, 0 op_sel_hi:[1,1,0]
	v_fma_mix_f32 v84, v51, v8, v84 op_sel:[0,1,0] op_sel_hi:[1,1,0]
	v_fma_mix_f32 v84, v53, v9, v84 op_sel_hi:[1,1,0]
	v_fma_mix_f32 v84, v55, v9, v84 op_sel:[0,1,0] op_sel_hi:[1,1,0]
	v_fma_mix_f32 v84, v56, v10, v84 op_sel_hi:[1,1,0]
	v_fma_mix_f32 v84, v58, v10, v84 op_sel:[0,1,0] op_sel_hi:[1,1,0]
	v_fma_mix_f32 v84, v60, v11, v84 op_sel_hi:[1,1,0]
	v_fma_mix_f32 v84, v62, v11, v84 op_sel:[0,1,0] op_sel_hi:[1,1,0]
	v_fma_mixlo_f16 v84, v84, v18, 0 op_sel:[0,1,0] op_sel_hi:[0,1,0]
	v_add_f16_e32 v69, v69, v84
	v_fma_mix_f32 v84, v44, v8, 0 op_sel_hi:[1,1,0]
	v_fma_mix_f32 v84, v45, v8, v84 op_sel:[0,1,0] op_sel_hi:[1,1,0]
	v_fma_mix_f32 v84, v46, v9, v84 op_sel_hi:[1,1,0]
	v_fma_mix_f32 v84, v47, v9, v84 op_sel:[0,1,0] op_sel_hi:[1,1,0]
	v_fma_mix_f32 v84, v48, v10, v84 op_sel_hi:[1,1,0]
	v_fma_mix_f32 v84, v50, v10, v84 op_sel:[0,1,0] op_sel_hi:[1,1,0]
	v_fma_mix_f32 v84, v52, v11, v84 op_sel_hi:[1,1,0]
	v_fma_mix_f32 v84, v54, v11, v84 op_sel:[0,1,0] op_sel_hi:[1,1,0]
	v_fma_mixlo_f16 v84, v84, v19, 0 op_sel_hi:[0,1,0]
	v_add_f16_e32 v70, v70, v84
	v_fma_mix_f32 v84, v42, v8, 0 op_sel_hi:[1,1,0]
	v_fma_mix_f32 v8, v43, v8, v84 op_sel:[0,1,0] op_sel_hi:[1,1,0]
	v_fma_mix_f32 v8, v41, v9, v8 op_sel_hi:[1,1,0]
	v_fma_mix_f32 v8, v40, v9, v8 op_sel:[0,1,0] op_sel_hi:[1,1,0]
	v_fma_mix_f32 v8, v38, v10, v8 op_sel_hi:[1,1,0]
	v_fma_mix_f32 v8, v37, v10, v8 op_sel:[0,1,0] op_sel_hi:[1,1,0]
	v_fma_mix_f32 v8, v36, v11, v8 op_sel_hi:[1,1,0]
	v_fma_mix_f32 v8, v21, v11, v8 op_sel:[0,1,0] op_sel_hi:[1,1,0]
	v_fma_mixlo_f16 v8, v8, v19, 0 op_sel:[0,1,0] op_sel_hi:[0,1,0]
	v_add_f16_e32 v71, v71, v8
	ds_read_b128 v[8:11], v27 offset:528
	s_waitcnt lgkmcnt(0)
	v_fma_mix_f32 v84, v57, v8, 0 op_sel_hi:[1,1,0]
	v_fma_mix_f32 v84, v59, v8, v84 op_sel:[0,1,0] op_sel_hi:[1,1,0]
	v_fma_mix_f32 v84, v61, v9, v84 op_sel_hi:[1,1,0]
	v_fma_mix_f32 v84, v63, v9, v84 op_sel:[0,1,0] op_sel_hi:[1,1,0]
	v_fma_mix_f32 v84, v64, v10, v84 op_sel_hi:[1,1,0]
	v_fma_mix_f32 v84, v65, v10, v84 op_sel:[0,1,0] op_sel_hi:[1,1,0]
	v_fma_mix_f32 v84, v66, v11, v84 op_sel_hi:[1,1,0]
	v_fma_mix_f32 v84, v67, v11, v84 op_sel:[0,1,0] op_sel_hi:[1,1,0]
	v_fma_mixlo_f16 v84, v84, v18, 0 op_sel_hi:[0,1,0]
	v_add_f16_e32 v72, v72, v84
	v_fma_mix_f32 v84, v49, v8, 0 op_sel_hi:[1,1,0]
	v_fma_mix_f32 v84, v51, v8, v84 op_sel:[0,1,0] op_sel_hi:[1,1,0]
	v_fma_mix_f32 v84, v53, v9, v84 op_sel_hi:[1,1,0]
	v_fma_mix_f32 v84, v55, v9, v84 op_sel:[0,1,0] op_sel_hi:[1,1,0]
	v_fma_mix_f32 v84, v56, v10, v84 op_sel_hi:[1,1,0]
	v_fma_mix_f32 v84, v58, v10, v84 op_sel:[0,1,0] op_sel_hi:[1,1,0]
	v_fma_mix_f32 v84, v60, v11, v84 op_sel_hi:[1,1,0]
	v_fma_mix_f32 v84, v62, v11, v84 op_sel:[0,1,0] op_sel_hi:[1,1,0]
	v_fma_mixlo_f16 v84, v84, v18, 0 op_sel:[0,1,0] op_sel_hi:[0,1,0]
	v_add_f16_e32 v73, v73, v84
	v_fma_mix_f32 v84, v44, v8, 0 op_sel_hi:[1,1,0]
	v_fma_mix_f32 v84, v45, v8, v84 op_sel:[0,1,0] op_sel_hi:[1,1,0]
	;; [unrolled: 42-line block ×4, first 2 shown]
	v_fma_mix_f32 v84, v46, v9, v84 op_sel_hi:[1,1,0]
	v_fma_mix_f32 v84, v47, v9, v84 op_sel:[0,1,0] op_sel_hi:[1,1,0]
	v_fma_mix_f32 v84, v48, v10, v84 op_sel_hi:[1,1,0]
	v_fma_mix_f32 v84, v50, v10, v84 op_sel:[0,1,0] op_sel_hi:[1,1,0]
	;; [unrolled: 2-line block ×3, first 2 shown]
	v_fma_mixlo_f16 v84, v84, v19, 0 op_sel_hi:[0,1,0]
	v_add_f16_e32 v82, v82, v84
	v_fma_mix_f32 v84, v42, v8, 0 op_sel_hi:[1,1,0]
	v_fma_mix_f32 v8, v43, v8, v84 op_sel:[0,1,0] op_sel_hi:[1,1,0]
	v_fma_mix_f32 v8, v41, v9, v8 op_sel_hi:[1,1,0]
	v_fma_mix_f32 v8, v40, v9, v8 op_sel:[0,1,0] op_sel_hi:[1,1,0]
	;; [unrolled: 2-line block ×4, first 2 shown]
	v_fma_mixlo_f16 v8, v8, v19, 0 op_sel:[0,1,0] op_sel_hi:[0,1,0]
	v_add_f16_e32 v83, v83, v8
	ds_read_b128 v[8:11], v27 offset:1296
	s_waitcnt lgkmcnt(0)
	v_fma_mix_f32 v49, v49, v8, 0 op_sel_hi:[1,1,0]
	v_fma_mix_f32 v57, v57, v8, 0 op_sel_hi:[1,1,0]
	v_fma_mix_f32 v49, v51, v8, v49 op_sel:[0,1,0] op_sel_hi:[1,1,0]
	v_fma_mix_f32 v57, v59, v8, v57 op_sel:[0,1,0] op_sel_hi:[1,1,0]
	v_fma_mix_f32 v49, v53, v9, v49 op_sel_hi:[1,1,0]
	v_fma_mix_f32 v57, v61, v9, v57 op_sel_hi:[1,1,0]
	v_fma_mix_f32 v49, v55, v9, v49 op_sel:[0,1,0] op_sel_hi:[1,1,0]
	v_fma_mix_f32 v57, v63, v9, v57 op_sel:[0,1,0] op_sel_hi:[1,1,0]
	;; [unrolled: 4-line block ×4, first 2 shown]
	v_fma_mixlo_f16 v49, v49, v18, 0 op_sel:[0,1,0] op_sel_hi:[0,1,0]
	v_fma_mixlo_f16 v57, v57, v18, 0 op_sel_hi:[0,1,0]
	v_add_f16_e32 v49, v20, v49
	v_fma_mix_f32 v20, v44, v8, 0 op_sel_hi:[1,1,0]
	v_add_f16_e32 v39, v39, v57
	v_fma_mix_f32 v20, v45, v8, v20 op_sel:[0,1,0] op_sel_hi:[1,1,0]
	v_fma_mix_f32 v20, v46, v9, v20 op_sel_hi:[1,1,0]
	v_fma_mix_f32 v20, v47, v9, v20 op_sel:[0,1,0] op_sel_hi:[1,1,0]
	v_fma_mix_f32 v20, v48, v10, v20 op_sel_hi:[1,1,0]
	;; [unrolled: 2-line block ×3, first 2 shown]
	v_fma_mix_f32 v20, v54, v11, v20 op_sel:[0,1,0] op_sel_hi:[1,1,0]
	v_fma_mixlo_f16 v20, v20, v19, 0 op_sel_hi:[0,1,0]
	v_add_f16_e32 v44, v15, v20
	v_fma_mix_f32 v15, v42, v8, 0 op_sel_hi:[1,1,0]
	v_fma_mix_f32 v8, v43, v8, v15 op_sel:[0,1,0] op_sel_hi:[1,1,0]
	v_fma_mix_f32 v8, v41, v9, v8 op_sel_hi:[1,1,0]
	v_fma_mix_f32 v8, v40, v9, v8 op_sel:[0,1,0] op_sel_hi:[1,1,0]
	;; [unrolled: 2-line block ×4, first 2 shown]
	v_fma_mixlo_f16 v8, v8, v19, 0 op_sel:[0,1,0] op_sel_hi:[0,1,0]
	v_add_f16_e32 v37, v14, v8
	v_add_co_u32 v8, vcc_lo, v12, s2
	v_add_co_ci_u32_e64 v9, null, s3, v13, vcc_lo
	v_add_co_u32 v20, vcc_lo, v8, s2
	v_add_co_ci_u32_e64 v21, null, s3, v9, vcc_lo
	s_clause 0x1
	global_load_dwordx4 v[12:15], v[8:9], off
	global_load_dwordx4 v[8:11], v[20:21], off
	s_waitcnt vmcnt(1)
	v_sub_nc_u32_sdwa v36, v12, v31 dst_sel:DWORD dst_unused:UNUSED_PAD src0_sel:BYTE_0 src1_sel:DWORD
	v_sub_nc_u32_sdwa v38, v12, v31 dst_sel:DWORD dst_unused:UNUSED_PAD src0_sel:BYTE_1 src1_sel:DWORD
	v_sub_nc_u32_sdwa v40, v12, v31 dst_sel:DWORD dst_unused:UNUSED_PAD src0_sel:BYTE_2 src1_sel:DWORD
	s_waitcnt vmcnt(0)
	v_sub_nc_u32_sdwa v61, v11, v28 dst_sel:DWORD dst_unused:UNUSED_PAD src0_sel:BYTE_0 src1_sel:DWORD
	v_sub_nc_u32_sdwa v12, v12, v31 dst_sel:DWORD dst_unused:UNUSED_PAD src0_sel:BYTE_3 src1_sel:DWORD
	v_cvt_f32_i32_e32 v36, v36
	v_cvt_f32_i32_e32 v38, v38
	;; [unrolled: 1-line block ×5, first 2 shown]
	v_cvt_f16_f32_e32 v36, v36
	v_cvt_f16_f32_e32 v38, v38
	;; [unrolled: 1-line block ×4, first 2 shown]
	v_sub_nc_u32_sdwa v61, v11, v28 dst_sel:DWORD dst_unused:UNUSED_PAD src0_sel:BYTE_1 src1_sel:DWORD
	v_sub_nc_u32_sdwa v41, v8, v31 dst_sel:DWORD dst_unused:UNUSED_PAD src0_sel:BYTE_0 src1_sel:DWORD
	v_cvt_f16_f32_e32 v12, v12
	v_sub_nc_u32_sdwa v42, v8, v31 dst_sel:DWORD dst_unused:UNUSED_PAD src0_sel:BYTE_1 src1_sel:DWORD
	v_sub_nc_u32_sdwa v43, v8, v31 dst_sel:DWORD dst_unused:UNUSED_PAD src0_sel:BYTE_2 src1_sel:DWORD
	v_cvt_f32_i32_e32 v61, v61
	v_cvt_f32_i32_e32 v41, v41
	v_sub_nc_u32_sdwa v8, v8, v31 dst_sel:DWORD dst_unused:UNUSED_PAD src0_sel:BYTE_3 src1_sel:DWORD
	v_cvt_f32_i32_e32 v42, v42
	v_cvt_f32_i32_e32 v43, v43
	v_cvt_f16_f32_e32 v87, v61
	v_sub_nc_u32_sdwa v61, v11, v28 dst_sel:DWORD dst_unused:UNUSED_PAD src0_sel:BYTE_2 src1_sel:DWORD
	v_sub_nc_u32_sdwa v11, v11, v28 dst_sel:DWORD dst_unused:UNUSED_PAD src0_sel:BYTE_3 src1_sel:DWORD
	v_cvt_f16_f32_e32 v41, v41
	v_cvt_f16_f32_e32 v42, v42
	;; [unrolled: 1-line block ×3, first 2 shown]
	v_cvt_f32_i32_e32 v8, v8
	v_cvt_f32_i32_e32 v11, v11
	v_sub_nc_u32_sdwa v45, v13, v30 dst_sel:DWORD dst_unused:UNUSED_PAD src0_sel:BYTE_0 src1_sel:DWORD
	v_sub_nc_u32_sdwa v46, v13, v30 dst_sel:DWORD dst_unused:UNUSED_PAD src0_sel:BYTE_1 src1_sel:DWORD
	v_sub_nc_u32_sdwa v47, v13, v30 dst_sel:DWORD dst_unused:UNUSED_PAD src0_sel:BYTE_2 src1_sel:DWORD
	v_cvt_f16_f32_e32 v8, v8
	v_cvt_f16_f32_e32 v89, v11
	v_fma_mix_f32 v11, v36, v4, 0 op_sel_hi:[1,1,0]
	v_cvt_f32_i32_e32 v45, v45
	v_cvt_f32_i32_e32 v46, v46
	;; [unrolled: 1-line block ×3, first 2 shown]
	v_sub_nc_u32_sdwa v13, v13, v30 dst_sel:DWORD dst_unused:UNUSED_PAD src0_sel:BYTE_3 src1_sel:DWORD
	v_fma_mix_f32 v11, v38, v4, v11 op_sel:[0,1,0] op_sel_hi:[1,1,0]
	v_cvt_f16_f32_e32 v45, v45
	v_cvt_f16_f32_e32 v46, v46
	;; [unrolled: 1-line block ×3, first 2 shown]
	v_cvt_f32_i32_e32 v13, v13
	v_fma_mix_f32 v11, v40, v5, v11 op_sel_hi:[1,1,0]
	v_sub_nc_u32_sdwa v48, v9, v30 dst_sel:DWORD dst_unused:UNUSED_PAD src0_sel:BYTE_0 src1_sel:DWORD
	v_sub_nc_u32_sdwa v50, v9, v30 dst_sel:DWORD dst_unused:UNUSED_PAD src0_sel:BYTE_1 src1_sel:DWORD
	v_sub_nc_u32_sdwa v51, v9, v30 dst_sel:DWORD dst_unused:UNUSED_PAD src0_sel:BYTE_2 src1_sel:DWORD
	v_cvt_f16_f32_e32 v13, v13
	v_fma_mix_f32 v11, v12, v5, v11 op_sel:[0,1,0] op_sel_hi:[1,1,0]
	v_cvt_f32_i32_e32 v48, v48
	v_cvt_f32_i32_e32 v50, v50
	;; [unrolled: 1-line block ×3, first 2 shown]
	v_sub_nc_u32_sdwa v9, v9, v30 dst_sel:DWORD dst_unused:UNUSED_PAD src0_sel:BYTE_3 src1_sel:DWORD
	v_fma_mix_f32 v11, v41, v6, v11 op_sel_hi:[1,1,0]
	v_cvt_f16_f32_e32 v48, v48
	v_cvt_f16_f32_e32 v50, v50
	;; [unrolled: 1-line block ×3, first 2 shown]
	v_cvt_f32_i32_e32 v9, v9
	v_fma_mix_f32 v11, v42, v6, v11 op_sel:[0,1,0] op_sel_hi:[1,1,0]
	v_sub_nc_u32_sdwa v52, v14, v29 dst_sel:DWORD dst_unused:UNUSED_PAD src0_sel:BYTE_0 src1_sel:DWORD
	v_sub_nc_u32_sdwa v53, v14, v29 dst_sel:DWORD dst_unused:UNUSED_PAD src0_sel:BYTE_1 src1_sel:DWORD
	v_sub_nc_u32_sdwa v54, v14, v29 dst_sel:DWORD dst_unused:UNUSED_PAD src0_sel:BYTE_2 src1_sel:DWORD
	v_cvt_f16_f32_e32 v9, v9
	v_fma_mix_f32 v11, v43, v7, v11 op_sel_hi:[1,1,0]
	v_cvt_f32_i32_e32 v52, v52
	v_cvt_f32_i32_e32 v53, v53
	;; [unrolled: 1-line block ×3, first 2 shown]
	v_sub_nc_u32_sdwa v14, v14, v29 dst_sel:DWORD dst_unused:UNUSED_PAD src0_sel:BYTE_3 src1_sel:DWORD
	v_fma_mix_f32 v11, v8, v7, v11 op_sel:[0,1,0] op_sel_hi:[1,1,0]
	v_cvt_f16_f32_e32 v52, v52
	v_cvt_f16_f32_e32 v53, v53
	;; [unrolled: 1-line block ×3, first 2 shown]
	v_cvt_f32_i32_e32 v14, v14
	v_fma_mixlo_f16 v11, v11, v18, 0 op_sel_hi:[0,1,0]
	v_sub_nc_u32_sdwa v55, v10, v29 dst_sel:DWORD dst_unused:UNUSED_PAD src0_sel:BYTE_0 src1_sel:DWORD
	v_sub_nc_u32_sdwa v56, v10, v29 dst_sel:DWORD dst_unused:UNUSED_PAD src0_sel:BYTE_1 src1_sel:DWORD
	v_sub_nc_u32_sdwa v57, v10, v29 dst_sel:DWORD dst_unused:UNUSED_PAD src0_sel:BYTE_2 src1_sel:DWORD
	v_cvt_f16_f32_e32 v14, v14
	v_add_f16_e32 v90, v35, v11
	v_fma_mix_f32 v11, v45, v4, 0 op_sel_hi:[1,1,0]
	v_cvt_f32_i32_e32 v55, v55
	v_cvt_f32_i32_e32 v56, v56
	;; [unrolled: 1-line block ×3, first 2 shown]
	v_sub_nc_u32_sdwa v10, v10, v29 dst_sel:DWORD dst_unused:UNUSED_PAD src0_sel:BYTE_3 src1_sel:DWORD
	v_fma_mix_f32 v11, v46, v4, v11 op_sel:[0,1,0] op_sel_hi:[1,1,0]
	v_cvt_f16_f32_e32 v55, v55
	v_cvt_f16_f32_e32 v56, v56
	;; [unrolled: 1-line block ×3, first 2 shown]
	v_cvt_f32_i32_e32 v10, v10
	v_fma_mix_f32 v11, v47, v5, v11 op_sel_hi:[1,1,0]
	v_sub_nc_u32_sdwa v58, v15, v28 dst_sel:DWORD dst_unused:UNUSED_PAD src0_sel:BYTE_0 src1_sel:DWORD
	v_sub_nc_u32_sdwa v59, v15, v28 dst_sel:DWORD dst_unused:UNUSED_PAD src0_sel:BYTE_1 src1_sel:DWORD
	v_sub_nc_u32_sdwa v60, v15, v28 dst_sel:DWORD dst_unused:UNUSED_PAD src0_sel:BYTE_2 src1_sel:DWORD
	v_cvt_f16_f32_e32 v10, v10
	v_fma_mix_f32 v11, v13, v5, v11 op_sel:[0,1,0] op_sel_hi:[1,1,0]
	v_cvt_f32_i32_e32 v58, v58
	v_cvt_f32_i32_e32 v59, v59
	;; [unrolled: 1-line block ×3, first 2 shown]
	v_sub_nc_u32_sdwa v15, v15, v28 dst_sel:DWORD dst_unused:UNUSED_PAD src0_sel:BYTE_3 src1_sel:DWORD
	v_fma_mix_f32 v11, v48, v6, v11 op_sel_hi:[1,1,0]
	v_cvt_f16_f32_e32 v58, v58
	v_cvt_f16_f32_e32 v59, v59
	;; [unrolled: 1-line block ×3, first 2 shown]
	v_cvt_f32_i32_e32 v15, v15
	v_fma_mix_f32 v11, v50, v6, v11 op_sel:[0,1,0] op_sel_hi:[1,1,0]
	v_cvt_f32_i32_e32 v61, v61
	v_cvt_f16_f32_e32 v15, v15
	v_fma_mix_f32 v11, v51, v7, v11 op_sel_hi:[1,1,0]
	v_cvt_f16_f32_e32 v88, v61
	v_fma_mix_f32 v11, v9, v7, v11 op_sel:[0,1,0] op_sel_hi:[1,1,0]
	v_fma_mixlo_f16 v11, v11, v18, 0 op_sel:[0,1,0] op_sel_hi:[0,1,0]
	v_add_f16_e32 v91, v34, v11
	v_fma_mix_f32 v11, v52, v4, 0 op_sel_hi:[1,1,0]
	v_fma_mix_f32 v11, v53, v4, v11 op_sel:[0,1,0] op_sel_hi:[1,1,0]
	v_fma_mix_f32 v11, v54, v5, v11 op_sel_hi:[1,1,0]
	v_fma_mix_f32 v11, v14, v5, v11 op_sel:[0,1,0] op_sel_hi:[1,1,0]
	;; [unrolled: 2-line block ×4, first 2 shown]
	v_fma_mixlo_f16 v11, v11, v19, 0 op_sel_hi:[0,1,0]
	v_add_f16_e32 v92, v33, v11
	v_fma_mix_f32 v11, v58, v4, 0 op_sel_hi:[1,1,0]
	v_fma_mix_f32 v4, v59, v4, v11 op_sel:[0,1,0] op_sel_hi:[1,1,0]
	v_fma_mix_f32 v4, v60, v5, v4 op_sel_hi:[1,1,0]
	v_fma_mix_f32 v4, v15, v5, v4 op_sel:[0,1,0] op_sel_hi:[1,1,0]
	;; [unrolled: 2-line block ×4, first 2 shown]
	v_fma_mixlo_f16 v4, v4, v19, 0 op_sel:[0,1,0] op_sel_hi:[0,1,0]
	v_add_f16_e32 v93, v32, v4
	ds_read_b128 v[4:7], v27 offset:288
	s_waitcnt lgkmcnt(0)
	v_fma_mix_f32 v11, v36, v4, 0 op_sel_hi:[1,1,0]
	v_fma_mix_f32 v11, v38, v4, v11 op_sel:[0,1,0] op_sel_hi:[1,1,0]
	v_fma_mix_f32 v11, v40, v5, v11 op_sel_hi:[1,1,0]
	v_fma_mix_f32 v11, v12, v5, v11 op_sel:[0,1,0] op_sel_hi:[1,1,0]
	;; [unrolled: 2-line block ×4, first 2 shown]
	v_fma_mixlo_f16 v11, v11, v18, 0 op_sel_hi:[0,1,0]
	v_add_f16_e32 v84, v68, v11
	v_fma_mix_f32 v11, v45, v4, 0 op_sel_hi:[1,1,0]
	v_fma_mix_f32 v11, v46, v4, v11 op_sel:[0,1,0] op_sel_hi:[1,1,0]
	v_fma_mix_f32 v11, v47, v5, v11 op_sel_hi:[1,1,0]
	v_fma_mix_f32 v11, v13, v5, v11 op_sel:[0,1,0] op_sel_hi:[1,1,0]
	;; [unrolled: 2-line block ×4, first 2 shown]
	v_fma_mixlo_f16 v11, v11, v18, 0 op_sel:[0,1,0] op_sel_hi:[0,1,0]
	v_add_f16_e32 v85, v69, v11
	v_fma_mix_f32 v11, v52, v4, 0 op_sel_hi:[1,1,0]
	v_fma_mix_f32 v11, v53, v4, v11 op_sel:[0,1,0] op_sel_hi:[1,1,0]
	v_fma_mix_f32 v11, v54, v5, v11 op_sel_hi:[1,1,0]
	v_fma_mix_f32 v11, v14, v5, v11 op_sel:[0,1,0] op_sel_hi:[1,1,0]
	;; [unrolled: 2-line block ×4, first 2 shown]
	v_fma_mixlo_f16 v11, v11, v19, 0 op_sel_hi:[0,1,0]
	v_add_f16_e32 v69, v70, v11
	v_fma_mix_f32 v11, v58, v4, 0 op_sel_hi:[1,1,0]
	v_fma_mix_f32 v4, v59, v4, v11 op_sel:[0,1,0] op_sel_hi:[1,1,0]
	v_fma_mix_f32 v4, v60, v5, v4 op_sel_hi:[1,1,0]
	v_fma_mix_f32 v4, v15, v5, v4 op_sel:[0,1,0] op_sel_hi:[1,1,0]
	;; [unrolled: 2-line block ×4, first 2 shown]
	v_fma_mixlo_f16 v4, v4, v19, 0 op_sel:[0,1,0] op_sel_hi:[0,1,0]
	v_add_f16_e32 v70, v71, v4
	ds_read_b128 v[4:7], v27 offset:544
	s_waitcnt lgkmcnt(0)
	v_fma_mix_f32 v11, v36, v4, 0 op_sel_hi:[1,1,0]
	v_fma_mix_f32 v11, v38, v4, v11 op_sel:[0,1,0] op_sel_hi:[1,1,0]
	v_fma_mix_f32 v11, v40, v5, v11 op_sel_hi:[1,1,0]
	v_fma_mix_f32 v11, v12, v5, v11 op_sel:[0,1,0] op_sel_hi:[1,1,0]
	;; [unrolled: 2-line block ×4, first 2 shown]
	v_fma_mixlo_f16 v11, v11, v18, 0 op_sel_hi:[0,1,0]
	v_add_f16_e32 v33, v72, v11
	v_fma_mix_f32 v11, v45, v4, 0 op_sel_hi:[1,1,0]
	v_fma_mix_f32 v11, v46, v4, v11 op_sel:[0,1,0] op_sel_hi:[1,1,0]
	v_fma_mix_f32 v11, v47, v5, v11 op_sel_hi:[1,1,0]
	v_fma_mix_f32 v11, v13, v5, v11 op_sel:[0,1,0] op_sel_hi:[1,1,0]
	;; [unrolled: 2-line block ×4, first 2 shown]
	v_fma_mixlo_f16 v11, v11, v18, 0 op_sel:[0,1,0] op_sel_hi:[0,1,0]
	v_add_f16_e32 v68, v73, v11
	v_fma_mix_f32 v11, v52, v4, 0 op_sel_hi:[1,1,0]
	v_fma_mix_f32 v11, v53, v4, v11 op_sel:[0,1,0] op_sel_hi:[1,1,0]
	v_fma_mix_f32 v11, v54, v5, v11 op_sel_hi:[1,1,0]
	v_fma_mix_f32 v11, v14, v5, v11 op_sel:[0,1,0] op_sel_hi:[1,1,0]
	;; [unrolled: 2-line block ×4, first 2 shown]
	v_fma_mixlo_f16 v11, v11, v19, 0 op_sel_hi:[0,1,0]
	v_add_f16_e32 v32, v74, v11
	v_fma_mix_f32 v11, v58, v4, 0 op_sel_hi:[1,1,0]
	ds_read_b128 v[71:74], v27 offset:1312
	v_fma_mix_f32 v4, v59, v4, v11 op_sel:[0,1,0] op_sel_hi:[1,1,0]
	v_fma_mix_f32 v4, v60, v5, v4 op_sel_hi:[1,1,0]
	v_fma_mix_f32 v4, v15, v5, v4 op_sel:[0,1,0] op_sel_hi:[1,1,0]
	v_fma_mix_f32 v4, v86, v6, v4 op_sel_hi:[1,1,0]
	v_fma_mix_f32 v4, v87, v6, v4 op_sel:[0,1,0] op_sel_hi:[1,1,0]
	v_fma_mix_f32 v4, v88, v7, v4 op_sel_hi:[1,1,0]
	v_fma_mix_f32 v4, v89, v7, v4 op_sel:[0,1,0] op_sel_hi:[1,1,0]
	v_fma_mixlo_f16 v4, v4, v19, 0 op_sel:[0,1,0] op_sel_hi:[0,1,0]
	v_add_f16_e32 v67, v75, v4
	ds_read_b128 v[4:7], v27 offset:800
	s_waitcnt lgkmcnt(0)
	v_fma_mix_f32 v11, v36, v4, 0 op_sel_hi:[1,1,0]
	v_fma_mix_f32 v11, v38, v4, v11 op_sel:[0,1,0] op_sel_hi:[1,1,0]
	v_fma_mix_f32 v11, v40, v5, v11 op_sel_hi:[1,1,0]
	v_fma_mix_f32 v11, v12, v5, v11 op_sel:[0,1,0] op_sel_hi:[1,1,0]
	;; [unrolled: 2-line block ×4, first 2 shown]
	v_fma_mixlo_f16 v11, v11, v18, 0 op_sel_hi:[0,1,0]
	v_add_f16_e32 v35, v76, v11
	v_fma_mix_f32 v11, v45, v4, 0 op_sel_hi:[1,1,0]
	v_fma_mix_f32 v11, v46, v4, v11 op_sel:[0,1,0] op_sel_hi:[1,1,0]
	v_fma_mix_f32 v11, v47, v5, v11 op_sel_hi:[1,1,0]
	v_fma_mix_f32 v11, v13, v5, v11 op_sel:[0,1,0] op_sel_hi:[1,1,0]
	;; [unrolled: 2-line block ×4, first 2 shown]
	v_fma_mixlo_f16 v11, v11, v18, 0 op_sel:[0,1,0] op_sel_hi:[0,1,0]
	v_add_f16_e32 v66, v77, v11
	v_fma_mix_f32 v11, v52, v4, 0 op_sel_hi:[1,1,0]
	v_fma_mix_f32 v11, v53, v4, v11 op_sel:[0,1,0] op_sel_hi:[1,1,0]
	v_fma_mix_f32 v11, v54, v5, v11 op_sel_hi:[1,1,0]
	v_fma_mix_f32 v11, v14, v5, v11 op_sel:[0,1,0] op_sel_hi:[1,1,0]
	;; [unrolled: 2-line block ×4, first 2 shown]
	v_fma_mixlo_f16 v11, v11, v19, 0 op_sel_hi:[0,1,0]
	v_add_f16_e32 v34, v78, v11
	v_fma_mix_f32 v11, v58, v4, 0 op_sel_hi:[1,1,0]
	v_fma_mix_f32 v4, v59, v4, v11 op_sel:[0,1,0] op_sel_hi:[1,1,0]
	v_fma_mix_f32 v4, v60, v5, v4 op_sel_hi:[1,1,0]
	v_fma_mix_f32 v4, v15, v5, v4 op_sel:[0,1,0] op_sel_hi:[1,1,0]
	;; [unrolled: 2-line block ×4, first 2 shown]
	v_fma_mixlo_f16 v4, v4, v19, 0 op_sel:[0,1,0] op_sel_hi:[0,1,0]
	v_add_f16_e32 v65, v79, v4
	ds_read_b128 v[4:7], v27 offset:1056
	s_waitcnt lgkmcnt(0)
	v_fma_mix_f32 v11, v36, v4, 0 op_sel_hi:[1,1,0]
	v_fma_mix_f32 v11, v38, v4, v11 op_sel:[0,1,0] op_sel_hi:[1,1,0]
	v_fma_mix_f32 v11, v40, v5, v11 op_sel_hi:[1,1,0]
	v_fma_mix_f32 v11, v12, v5, v11 op_sel:[0,1,0] op_sel_hi:[1,1,0]
	v_fma_mix_f32 v11, v41, v6, v11 op_sel_hi:[1,1,0]
	v_fma_mix_f32 v11, v42, v6, v11 op_sel:[0,1,0] op_sel_hi:[1,1,0]
	v_fma_mix_f32 v11, v43, v7, v11 op_sel_hi:[1,1,0]
	v_fma_mix_f32 v11, v8, v7, v11 op_sel:[0,1,0] op_sel_hi:[1,1,0]
	v_fma_mixlo_f16 v11, v11, v18, 0 op_sel_hi:[0,1,0]
	v_add_f16_e32 v62, v80, v11
	v_fma_mix_f32 v11, v45, v4, 0 op_sel_hi:[1,1,0]
	v_fma_mix_f32 v11, v46, v4, v11 op_sel:[0,1,0] op_sel_hi:[1,1,0]
	v_fma_mix_f32 v11, v47, v5, v11 op_sel_hi:[1,1,0]
	v_fma_mix_f32 v11, v13, v5, v11 op_sel:[0,1,0] op_sel_hi:[1,1,0]
	v_fma_mix_f32 v11, v48, v6, v11 op_sel_hi:[1,1,0]
	v_fma_mix_f32 v11, v50, v6, v11 op_sel:[0,1,0] op_sel_hi:[1,1,0]
	v_fma_mix_f32 v11, v51, v7, v11 op_sel_hi:[1,1,0]
	v_fma_mix_f32 v11, v9, v7, v11 op_sel:[0,1,0] op_sel_hi:[1,1,0]
	v_fma_mixlo_f16 v11, v11, v18, 0 op_sel:[0,1,0] op_sel_hi:[0,1,0]
	v_add_f16_e32 v64, v81, v11
	v_fma_mix_f32 v11, v52, v4, 0 op_sel_hi:[1,1,0]
	v_fma_mix_f32 v11, v53, v4, v11 op_sel:[0,1,0] op_sel_hi:[1,1,0]
	v_fma_mix_f32 v11, v54, v5, v11 op_sel_hi:[1,1,0]
	v_fma_mix_f32 v11, v14, v5, v11 op_sel:[0,1,0] op_sel_hi:[1,1,0]
	v_fma_mix_f32 v11, v55, v6, v11 op_sel_hi:[1,1,0]
	v_fma_mix_f32 v11, v56, v6, v11 op_sel:[0,1,0] op_sel_hi:[1,1,0]
	v_fma_mix_f32 v11, v57, v7, v11 op_sel_hi:[1,1,0]
	v_fma_mix_f32 v11, v10, v7, v11 op_sel:[0,1,0] op_sel_hi:[1,1,0]
	v_fma_mixlo_f16 v11, v11, v19, 0 op_sel_hi:[0,1,0]
	v_add_f16_e32 v61, v82, v11
	v_fma_mix_f32 v11, v58, v4, 0 op_sel_hi:[1,1,0]
	v_fma_mix_f32 v4, v59, v4, v11 op_sel:[0,1,0] op_sel_hi:[1,1,0]
	v_fma_mix_f32 v4, v60, v5, v4 op_sel_hi:[1,1,0]
	v_fma_mix_f32 v4, v15, v5, v4 op_sel:[0,1,0] op_sel_hi:[1,1,0]
	v_fma_mix_f32 v4, v86, v6, v4 op_sel_hi:[1,1,0]
	v_fma_mix_f32 v4, v87, v6, v4 op_sel:[0,1,0] op_sel_hi:[1,1,0]
	v_fma_mix_f32 v4, v88, v7, v4 op_sel_hi:[1,1,0]
	v_fma_mix_f32 v4, v89, v7, v4 op_sel:[0,1,0] op_sel_hi:[1,1,0]
	v_fma_mixlo_f16 v4, v4, v19, 0 op_sel:[0,1,0] op_sel_hi:[0,1,0]
	v_add_f16_e32 v63, v83, v4
	;; [unrolled: 20-line block ×4, first 2 shown]
	v_add_co_u32 v4, vcc_lo, v20, s2
	v_add_co_ci_u32_e64 v5, null, s3, v21, vcc_lo
	global_load_dwordx4 v[12:15], v[4:5], off
	v_add_co_u32 v4, vcc_lo, v4, s2
	v_add_co_ci_u32_e64 v5, null, s3, v5, vcc_lo
	global_load_dwordx4 v[71:74], v[4:5], off
	s_waitcnt vmcnt(1)
	v_sub_nc_u32_sdwa v8, v12, v31 dst_sel:DWORD dst_unused:UNUSED_PAD src0_sel:BYTE_0 src1_sel:DWORD
	v_cvt_f32_i32_e32 v8, v8
	v_cvt_f16_f32_e32 v50, v8
	v_sub_nc_u32_sdwa v8, v12, v31 dst_sel:DWORD dst_unused:UNUSED_PAD src0_sel:BYTE_1 src1_sel:DWORD
	v_cvt_f32_i32_e32 v8, v8
	v_cvt_f16_f32_e32 v52, v8
	v_sub_nc_u32_sdwa v8, v12, v31 dst_sel:DWORD dst_unused:UNUSED_PAD src0_sel:BYTE_2 src1_sel:DWORD
	v_cvt_f32_i32_e32 v8, v8
	v_cvt_f16_f32_e32 v54, v8
	v_sub_nc_u32_sdwa v8, v12, v31 dst_sel:DWORD dst_unused:UNUSED_PAD src0_sel:BYTE_3 src1_sel:DWORD
	v_cvt_f32_i32_e32 v8, v8
	v_cvt_f16_f32_e32 v56, v8
	s_waitcnt vmcnt(0)
	v_sub_nc_u32_sdwa v8, v71, v31 dst_sel:DWORD dst_unused:UNUSED_PAD src0_sel:BYTE_0 src1_sel:DWORD
	v_cvt_f32_i32_e32 v8, v8
	v_cvt_f16_f32_e32 v57, v8
	v_sub_nc_u32_sdwa v8, v71, v31 dst_sel:DWORD dst_unused:UNUSED_PAD src0_sel:BYTE_1 src1_sel:DWORD
	v_cvt_f32_i32_e32 v8, v8
	v_cvt_f16_f32_e32 v58, v8
	v_sub_nc_u32_sdwa v8, v71, v31 dst_sel:DWORD dst_unused:UNUSED_PAD src0_sel:BYTE_2 src1_sel:DWORD
	v_cvt_f32_i32_e32 v8, v8
	v_cvt_f16_f32_e32 v59, v8
	v_sub_nc_u32_sdwa v8, v71, v31 dst_sel:DWORD dst_unused:UNUSED_PAD src0_sel:BYTE_3 src1_sel:DWORD
	v_cvt_f32_i32_e32 v8, v8
	v_cvt_f16_f32_e32 v60, v8
	v_sub_nc_u32_sdwa v8, v13, v30 dst_sel:DWORD dst_unused:UNUSED_PAD src0_sel:BYTE_0 src1_sel:DWORD
	v_cvt_f32_i32_e32 v8, v8
	v_cvt_f16_f32_e32 v45, v8
	v_sub_nc_u32_sdwa v8, v13, v30 dst_sel:DWORD dst_unused:UNUSED_PAD src0_sel:BYTE_1 src1_sel:DWORD
	v_cvt_f32_i32_e32 v8, v8
	v_cvt_f16_f32_e32 v46, v8
	v_sub_nc_u32_sdwa v8, v13, v30 dst_sel:DWORD dst_unused:UNUSED_PAD src0_sel:BYTE_2 src1_sel:DWORD
	v_cvt_f32_i32_e32 v8, v8
	v_cvt_f16_f32_e32 v47, v8
	v_sub_nc_u32_sdwa v8, v13, v30 dst_sel:DWORD dst_unused:UNUSED_PAD src0_sel:BYTE_3 src1_sel:DWORD
	v_cvt_f32_i32_e32 v8, v8
	v_cvt_f16_f32_e32 v48, v8
	;; [unrolled: 12-line block ×3, first 2 shown]
	v_sub_nc_u32_sdwa v8, v14, v29 dst_sel:DWORD dst_unused:UNUSED_PAD src0_sel:BYTE_0 src1_sel:DWORD
	v_cvt_f32_i32_e32 v8, v8
	v_cvt_f16_f32_e32 v37, v8
	v_sub_nc_u32_sdwa v8, v14, v29 dst_sel:DWORD dst_unused:UNUSED_PAD src0_sel:BYTE_1 src1_sel:DWORD
	v_cvt_f32_i32_e32 v8, v8
	v_cvt_f16_f32_e32 v38, v8
	v_sub_nc_u32_sdwa v8, v14, v29 dst_sel:DWORD dst_unused:UNUSED_PAD src0_sel:BYTE_2 src1_sel:DWORD
	v_cvt_f32_i32_e32 v8, v8
	v_cvt_f16_f32_e32 v39, v8
	v_sub_nc_u32_sdwa v8, v14, v29 dst_sel:DWORD dst_unused:UNUSED_PAD src0_sel:BYTE_3 src1_sel:DWORD
	v_fma_mix_f32 v14, v50, v0, 0 op_sel_hi:[1,1,0]
	v_cvt_f32_i32_e32 v8, v8
	v_fma_mix_f32 v14, v52, v0, v14 op_sel:[0,1,0] op_sel_hi:[1,1,0]
	v_cvt_f16_f32_e32 v40, v8
	v_sub_nc_u32_sdwa v8, v73, v29 dst_sel:DWORD dst_unused:UNUSED_PAD src0_sel:BYTE_0 src1_sel:DWORD
	v_fma_mix_f32 v14, v54, v1, v14 op_sel_hi:[1,1,0]
	v_cvt_f32_i32_e32 v8, v8
	v_fma_mix_f32 v14, v56, v1, v14 op_sel:[0,1,0] op_sel_hi:[1,1,0]
	v_cvt_f16_f32_e32 v41, v8
	v_sub_nc_u32_sdwa v8, v73, v29 dst_sel:DWORD dst_unused:UNUSED_PAD src0_sel:BYTE_1 src1_sel:DWORD
	v_fma_mix_f32 v14, v57, v2, v14 op_sel_hi:[1,1,0]
	v_cvt_f32_i32_e32 v8, v8
	v_fma_mix_f32 v14, v58, v2, v14 op_sel:[0,1,0] op_sel_hi:[1,1,0]
	v_cvt_f16_f32_e32 v42, v8
	v_sub_nc_u32_sdwa v8, v73, v29 dst_sel:DWORD dst_unused:UNUSED_PAD src0_sel:BYTE_2 src1_sel:DWORD
	v_fma_mix_f32 v14, v59, v3, v14 op_sel_hi:[1,1,0]
	v_cvt_f32_i32_e32 v8, v8
	v_fma_mix_f32 v14, v60, v3, v14 op_sel:[0,1,0] op_sel_hi:[1,1,0]
	v_cvt_f16_f32_e32 v43, v8
	v_sub_nc_u32_sdwa v8, v73, v29 dst_sel:DWORD dst_unused:UNUSED_PAD src0_sel:BYTE_3 src1_sel:DWORD
	v_fma_mixlo_f16 v14, v14, v18, 0 op_sel_hi:[0,1,0]
	v_cvt_f32_i32_e32 v8, v8
	v_add_f16_e32 v14, v90, v14
	v_cvt_f16_f32_e32 v44, v8
	v_sub_nc_u32_sdwa v8, v15, v28 dst_sel:DWORD dst_unused:UNUSED_PAD src0_sel:BYTE_0 src1_sel:DWORD
	v_cvt_f32_i32_e32 v8, v8
	v_cvt_f16_f32_e32 v30, v8
	v_sub_nc_u32_sdwa v8, v15, v28 dst_sel:DWORD dst_unused:UNUSED_PAD src0_sel:BYTE_1 src1_sel:DWORD
	v_fma_mix_f32 v20, v30, v0, 0 op_sel_hi:[1,1,0]
	v_cvt_f32_i32_e32 v8, v8
	v_cvt_f16_f32_e32 v31, v8
	v_sub_nc_u32_sdwa v8, v15, v28 dst_sel:DWORD dst_unused:UNUSED_PAD src0_sel:BYTE_2 src1_sel:DWORD
	v_cvt_f32_i32_e32 v8, v8
	v_cvt_f16_f32_e32 v29, v8
	v_sub_nc_u32_sdwa v8, v15, v28 dst_sel:DWORD dst_unused:UNUSED_PAD src0_sel:BYTE_3 src1_sel:DWORD
	v_fma_mix_f32 v15, v45, v0, 0 op_sel_hi:[1,1,0]
	v_cvt_f32_i32_e32 v8, v8
	v_fma_mix_f32 v15, v46, v0, v15 op_sel:[0,1,0] op_sel_hi:[1,1,0]
	v_cvt_f16_f32_e32 v13, v8
	v_fma_mix_f32 v15, v47, v1, v15 op_sel_hi:[1,1,0]
	v_sub_nc_u32_sdwa v8, v74, v28 dst_sel:DWORD dst_unused:UNUSED_PAD src0_sel:BYTE_0 src1_sel:DWORD
	v_fma_mix_f32 v15, v48, v1, v15 op_sel:[0,1,0] op_sel_hi:[1,1,0]
	v_cvt_f32_i32_e32 v8, v8
	v_fma_mix_f32 v15, v49, v2, v15 op_sel_hi:[1,1,0]
	v_cvt_f16_f32_e32 v12, v8
	v_sub_nc_u32_sdwa v8, v74, v28 dst_sel:DWORD dst_unused:UNUSED_PAD src0_sel:BYTE_1 src1_sel:DWORD
	v_fma_mix_f32 v15, v51, v2, v15 op_sel:[0,1,0] op_sel_hi:[1,1,0]
	v_cvt_f32_i32_e32 v8, v8
	v_fma_mix_f32 v15, v53, v3, v15 op_sel_hi:[1,1,0]
	v_cvt_f16_f32_e32 v10, v8
	v_sub_nc_u32_sdwa v8, v74, v28 dst_sel:DWORD dst_unused:UNUSED_PAD src0_sel:BYTE_2 src1_sel:DWORD
	v_fma_mix_f32 v15, v55, v3, v15 op_sel:[0,1,0] op_sel_hi:[1,1,0]
	v_cvt_f32_i32_e32 v8, v8
	v_fma_mixlo_f16 v15, v15, v18, 0 op_sel:[0,1,0] op_sel_hi:[0,1,0]
	v_cvt_f16_f32_e32 v9, v8
	v_sub_nc_u32_sdwa v8, v74, v28 dst_sel:DWORD dst_unused:UNUSED_PAD src0_sel:BYTE_3 src1_sel:DWORD
	v_add_f16_e32 v15, v91, v15
	v_cvt_f32_i32_e32 v8, v8
	v_pack_b32_f16 v15, v14, v15
	v_fma_mix_f32 v14, v37, v0, 0 op_sel_hi:[1,1,0]
	v_cvt_f16_f32_e32 v8, v8
	v_fma_mix_f32 v14, v38, v0, v14 op_sel:[0,1,0] op_sel_hi:[1,1,0]
	v_fma_mix_f32 v0, v31, v0, v20 op_sel:[0,1,0] op_sel_hi:[1,1,0]
	v_fma_mix_f32 v14, v39, v1, v14 op_sel_hi:[1,1,0]
	v_fma_mix_f32 v0, v29, v1, v0 op_sel_hi:[1,1,0]
	v_fma_mix_f32 v14, v40, v1, v14 op_sel:[0,1,0] op_sel_hi:[1,1,0]
	v_fma_mix_f32 v0, v13, v1, v0 op_sel:[0,1,0] op_sel_hi:[1,1,0]
	v_fma_mix_f32 v14, v41, v2, v14 op_sel_hi:[1,1,0]
	v_fma_mix_f32 v0, v12, v2, v0 op_sel_hi:[1,1,0]
	;; [unrolled: 4-line block ×3, first 2 shown]
	v_fma_mix_f32 v14, v44, v3, v14 op_sel:[0,1,0] op_sel_hi:[1,1,0]
	v_fma_mix_f32 v0, v8, v3, v0 op_sel:[0,1,0] op_sel_hi:[1,1,0]
	v_fma_mixlo_f16 v14, v14, v19, 0 op_sel_hi:[0,1,0]
	v_fma_mixlo_f16 v0, v0, v19, 0 op_sel:[0,1,0] op_sel_hi:[0,1,0]
	v_add_f16_e32 v14, v92, v14
	v_add_f16_e32 v0, v93, v0
	v_pack_b32_f16 v14, v14, v0
	ds_read_b128 v[0:3], v27 offset:304
	s_waitcnt lgkmcnt(0)
	v_fma_mix_f32 v20, v50, v0, 0 op_sel_hi:[1,1,0]
	v_fma_mix_f32 v21, v45, v0, 0 op_sel_hi:[1,1,0]
	;; [unrolled: 1-line block ×3, first 2 shown]
	v_fma_mix_f32 v20, v52, v0, v20 op_sel:[0,1,0] op_sel_hi:[1,1,0]
	v_fma_mix_f32 v21, v46, v0, v21 op_sel:[0,1,0] op_sel_hi:[1,1,0]
	v_fma_mix_f32 v20, v54, v1, v20 op_sel_hi:[1,1,0]
	v_fma_mix_f32 v21, v47, v1, v21 op_sel_hi:[1,1,0]
	v_fma_mix_f32 v20, v56, v1, v20 op_sel:[0,1,0] op_sel_hi:[1,1,0]
	v_fma_mix_f32 v21, v48, v1, v21 op_sel:[0,1,0] op_sel_hi:[1,1,0]
	v_fma_mix_f32 v20, v57, v2, v20 op_sel_hi:[1,1,0]
	v_fma_mix_f32 v21, v49, v2, v21 op_sel_hi:[1,1,0]
	;; [unrolled: 4-line block ×3, first 2 shown]
	v_fma_mix_f32 v20, v60, v3, v20 op_sel:[0,1,0] op_sel_hi:[1,1,0]
	v_fma_mix_f32 v21, v55, v3, v21 op_sel:[0,1,0] op_sel_hi:[1,1,0]
	v_fma_mixlo_f16 v20, v20, v18, 0 op_sel_hi:[0,1,0]
	v_fma_mixlo_f16 v21, v21, v18, 0 op_sel:[0,1,0] op_sel_hi:[0,1,0]
	v_add_f16_e32 v20, v84, v20
	v_add_f16_e32 v21, v85, v21
	v_pack_b32_f16 v21, v20, v21
	v_fma_mix_f32 v20, v37, v0, 0 op_sel_hi:[1,1,0]
	v_fma_mix_f32 v20, v38, v0, v20 op_sel:[0,1,0] op_sel_hi:[1,1,0]
	v_fma_mix_f32 v0, v31, v0, v28 op_sel:[0,1,0] op_sel_hi:[1,1,0]
	v_fma_mix_f32 v20, v39, v1, v20 op_sel_hi:[1,1,0]
	v_fma_mix_f32 v0, v29, v1, v0 op_sel_hi:[1,1,0]
	v_fma_mix_f32 v20, v40, v1, v20 op_sel:[0,1,0] op_sel_hi:[1,1,0]
	v_fma_mix_f32 v0, v13, v1, v0 op_sel:[0,1,0] op_sel_hi:[1,1,0]
	v_fma_mix_f32 v20, v41, v2, v20 op_sel_hi:[1,1,0]
	;; [unrolled: 4-line block ×3, first 2 shown]
	v_fma_mix_f32 v0, v9, v3, v0 op_sel_hi:[1,1,0]
	v_fma_mix_f32 v20, v44, v3, v20 op_sel:[0,1,0] op_sel_hi:[1,1,0]
	v_fma_mix_f32 v0, v8, v3, v0 op_sel:[0,1,0] op_sel_hi:[1,1,0]
	v_fma_mixlo_f16 v20, v20, v19, 0 op_sel_hi:[0,1,0]
	v_fma_mixlo_f16 v0, v0, v19, 0 op_sel:[0,1,0] op_sel_hi:[0,1,0]
	v_add_f16_e32 v20, v69, v20
	v_add_f16_e32 v0, v70, v0
	v_pack_b32_f16 v20, v20, v0
	ds_read_b128 v[0:3], v27 offset:560
	s_waitcnt lgkmcnt(0)
	v_fma_mix_f32 v28, v50, v0, 0 op_sel_hi:[1,1,0]
	v_fma_mix_f32 v28, v52, v0, v28 op_sel:[0,1,0] op_sel_hi:[1,1,0]
	v_fma_mix_f32 v28, v54, v1, v28 op_sel_hi:[1,1,0]
	v_fma_mix_f32 v28, v56, v1, v28 op_sel:[0,1,0] op_sel_hi:[1,1,0]
	v_fma_mix_f32 v28, v57, v2, v28 op_sel_hi:[1,1,0]
	v_fma_mix_f32 v28, v58, v2, v28 op_sel:[0,1,0] op_sel_hi:[1,1,0]
	v_fma_mix_f32 v28, v59, v3, v28 op_sel_hi:[1,1,0]
	v_fma_mix_f32 v28, v60, v3, v28 op_sel:[0,1,0] op_sel_hi:[1,1,0]
	v_fma_mixlo_f16 v28, v28, v18, 0 op_sel_hi:[0,1,0]
	v_add_f16_e32 v28, v33, v28
	v_fma_mix_f32 v33, v45, v0, 0 op_sel_hi:[1,1,0]
	v_fma_mix_f32 v33, v46, v0, v33 op_sel:[0,1,0] op_sel_hi:[1,1,0]
	v_fma_mix_f32 v33, v47, v1, v33 op_sel_hi:[1,1,0]
	v_fma_mix_f32 v33, v48, v1, v33 op_sel:[0,1,0] op_sel_hi:[1,1,0]
	v_fma_mix_f32 v33, v49, v2, v33 op_sel_hi:[1,1,0]
	v_fma_mix_f32 v33, v51, v2, v33 op_sel:[0,1,0] op_sel_hi:[1,1,0]
	v_fma_mix_f32 v33, v53, v3, v33 op_sel_hi:[1,1,0]
	v_fma_mix_f32 v33, v55, v3, v33 op_sel:[0,1,0] op_sel_hi:[1,1,0]
	v_fma_mixlo_f16 v33, v33, v18, 0 op_sel:[0,1,0] op_sel_hi:[0,1,0]
	v_add_f16_e32 v33, v68, v33
	v_pack_b32_f16 v33, v28, v33
	v_fma_mix_f32 v28, v37, v0, 0 op_sel_hi:[1,1,0]
	v_fma_mix_f32 v28, v38, v0, v28 op_sel:[0,1,0] op_sel_hi:[1,1,0]
	v_fma_mix_f32 v28, v39, v1, v28 op_sel_hi:[1,1,0]
	v_fma_mix_f32 v28, v40, v1, v28 op_sel:[0,1,0] op_sel_hi:[1,1,0]
	v_fma_mix_f32 v28, v41, v2, v28 op_sel_hi:[1,1,0]
	v_fma_mix_f32 v28, v42, v2, v28 op_sel:[0,1,0] op_sel_hi:[1,1,0]
	v_fma_mix_f32 v28, v43, v3, v28 op_sel_hi:[1,1,0]
	v_fma_mix_f32 v28, v44, v3, v28 op_sel:[0,1,0] op_sel_hi:[1,1,0]
	v_fma_mixlo_f16 v28, v28, v19, 0 op_sel_hi:[0,1,0]
	v_add_f16_e32 v28, v32, v28
	v_fma_mix_f32 v32, v30, v0, 0 op_sel_hi:[1,1,0]
	v_fma_mix_f32 v0, v31, v0, v32 op_sel:[0,1,0] op_sel_hi:[1,1,0]
	v_fma_mix_f32 v0, v29, v1, v0 op_sel_hi:[1,1,0]
	v_fma_mix_f32 v0, v13, v1, v0 op_sel:[0,1,0] op_sel_hi:[1,1,0]
	v_fma_mix_f32 v0, v12, v2, v0 op_sel_hi:[1,1,0]
	v_fma_mix_f32 v0, v10, v2, v0 op_sel:[0,1,0] op_sel_hi:[1,1,0]
	v_fma_mix_f32 v0, v9, v3, v0 op_sel_hi:[1,1,0]
	v_fma_mix_f32 v0, v8, v3, v0 op_sel:[0,1,0] op_sel_hi:[1,1,0]
	v_fma_mixlo_f16 v0, v0, v19, 0 op_sel:[0,1,0] op_sel_hi:[0,1,0]
	v_add_f16_e32 v0, v67, v0
	v_pack_b32_f16 v32, v28, v0
	ds_read_b128 v[0:3], v27 offset:816
	s_waitcnt lgkmcnt(0)
	v_fma_mix_f32 v28, v50, v0, 0 op_sel_hi:[1,1,0]
	v_fma_mix_f32 v28, v52, v0, v28 op_sel:[0,1,0] op_sel_hi:[1,1,0]
	v_fma_mix_f32 v28, v54, v1, v28 op_sel_hi:[1,1,0]
	v_fma_mix_f32 v28, v56, v1, v28 op_sel:[0,1,0] op_sel_hi:[1,1,0]
	v_fma_mix_f32 v28, v57, v2, v28 op_sel_hi:[1,1,0]
	v_fma_mix_f32 v28, v58, v2, v28 op_sel:[0,1,0] op_sel_hi:[1,1,0]
	v_fma_mix_f32 v28, v59, v3, v28 op_sel_hi:[1,1,0]
	v_fma_mix_f32 v28, v60, v3, v28 op_sel:[0,1,0] op_sel_hi:[1,1,0]
	v_fma_mixlo_f16 v28, v28, v18, 0 op_sel_hi:[0,1,0]
	v_add_f16_e32 v28, v35, v28
	v_fma_mix_f32 v35, v45, v0, 0 op_sel_hi:[1,1,0]
	v_fma_mix_f32 v35, v46, v0, v35 op_sel:[0,1,0] op_sel_hi:[1,1,0]
	v_fma_mix_f32 v35, v47, v1, v35 op_sel_hi:[1,1,0]
	v_fma_mix_f32 v35, v48, v1, v35 op_sel:[0,1,0] op_sel_hi:[1,1,0]
	v_fma_mix_f32 v35, v49, v2, v35 op_sel_hi:[1,1,0]
	v_fma_mix_f32 v35, v51, v2, v35 op_sel:[0,1,0] op_sel_hi:[1,1,0]
	v_fma_mix_f32 v35, v53, v3, v35 op_sel_hi:[1,1,0]
	v_fma_mix_f32 v35, v55, v3, v35 op_sel:[0,1,0] op_sel_hi:[1,1,0]
	v_fma_mixlo_f16 v35, v35, v18, 0 op_sel:[0,1,0] op_sel_hi:[0,1,0]
	v_add_f16_e32 v35, v66, v35
	v_pack_b32_f16 v35, v28, v35
	v_fma_mix_f32 v28, v37, v0, 0 op_sel_hi:[1,1,0]
	v_fma_mix_f32 v28, v38, v0, v28 op_sel:[0,1,0] op_sel_hi:[1,1,0]
	v_fma_mix_f32 v28, v39, v1, v28 op_sel_hi:[1,1,0]
	v_fma_mix_f32 v28, v40, v1, v28 op_sel:[0,1,0] op_sel_hi:[1,1,0]
	v_fma_mix_f32 v28, v41, v2, v28 op_sel_hi:[1,1,0]
	v_fma_mix_f32 v28, v42, v2, v28 op_sel:[0,1,0] op_sel_hi:[1,1,0]
	v_fma_mix_f32 v28, v43, v3, v28 op_sel_hi:[1,1,0]
	v_fma_mix_f32 v28, v44, v3, v28 op_sel:[0,1,0] op_sel_hi:[1,1,0]
	v_fma_mixlo_f16 v28, v28, v19, 0 op_sel_hi:[0,1,0]
	v_add_f16_e32 v28, v34, v28
	v_fma_mix_f32 v34, v30, v0, 0 op_sel_hi:[1,1,0]
	v_fma_mix_f32 v0, v31, v0, v34 op_sel:[0,1,0] op_sel_hi:[1,1,0]
	v_fma_mix_f32 v0, v29, v1, v0 op_sel_hi:[1,1,0]
	v_fma_mix_f32 v0, v13, v1, v0 op_sel:[0,1,0] op_sel_hi:[1,1,0]
	v_fma_mix_f32 v0, v12, v2, v0 op_sel_hi:[1,1,0]
	v_fma_mix_f32 v0, v10, v2, v0 op_sel:[0,1,0] op_sel_hi:[1,1,0]
	v_fma_mix_f32 v0, v9, v3, v0 op_sel_hi:[1,1,0]
	v_fma_mix_f32 v0, v8, v3, v0 op_sel:[0,1,0] op_sel_hi:[1,1,0]
	v_fma_mixlo_f16 v0, v0, v19, 0 op_sel:[0,1,0] op_sel_hi:[0,1,0]
	;; [unrolled: 44-line block ×3, first 2 shown]
	v_add_f16_e32 v0, v63, v0
	v_pack_b32_f16 v61, v28, v0
	ds_read_b128 v[0:3], v27 offset:1328
	s_waitcnt lgkmcnt(0)
	v_fma_mix_f32 v27, v50, v0, 0 op_sel_hi:[1,1,0]
	v_fma_mix_f32 v28, v45, v0, 0 op_sel_hi:[1,1,0]
	v_fma_mix_f32 v27, v52, v0, v27 op_sel:[0,1,0] op_sel_hi:[1,1,0]
	v_fma_mix_f32 v28, v46, v0, v28 op_sel:[0,1,0] op_sel_hi:[1,1,0]
	v_fma_mix_f32 v27, v54, v1, v27 op_sel_hi:[1,1,0]
	v_fma_mix_f32 v28, v47, v1, v28 op_sel_hi:[1,1,0]
	v_fma_mix_f32 v27, v56, v1, v27 op_sel:[0,1,0] op_sel_hi:[1,1,0]
	v_fma_mix_f32 v28, v48, v1, v28 op_sel:[0,1,0] op_sel_hi:[1,1,0]
	v_fma_mix_f32 v27, v57, v2, v27 op_sel_hi:[1,1,0]
	v_fma_mix_f32 v28, v49, v2, v28 op_sel_hi:[1,1,0]
	v_fma_mix_f32 v27, v58, v2, v27 op_sel:[0,1,0] op_sel_hi:[1,1,0]
	v_fma_mix_f32 v28, v51, v2, v28 op_sel:[0,1,0] op_sel_hi:[1,1,0]
	v_fma_mix_f32 v27, v59, v3, v27 op_sel_hi:[1,1,0]
	v_fma_mix_f32 v28, v53, v3, v28 op_sel_hi:[1,1,0]
	v_fma_mix_f32 v27, v60, v3, v27 op_sel:[0,1,0] op_sel_hi:[1,1,0]
	v_fma_mix_f32 v28, v55, v3, v28 op_sel:[0,1,0] op_sel_hi:[1,1,0]
	v_fma_mixlo_f16 v27, v27, v18, 0 op_sel_hi:[0,1,0]
	v_fma_mixlo_f16 v28, v28, v18, 0 op_sel:[0,1,0] op_sel_hi:[0,1,0]
	v_add_f16_e32 v27, v36, v27
	v_add_f16_e32 v11, v11, v28
	v_pack_b32_f16 v36, v27, v11
	v_fma_mix_f32 v11, v37, v0, 0 op_sel_hi:[1,1,0]
	v_fma_mix_f32 v11, v38, v0, v11 op_sel:[0,1,0] op_sel_hi:[1,1,0]
	v_fma_mix_f32 v11, v39, v1, v11 op_sel_hi:[1,1,0]
	v_fma_mix_f32 v11, v40, v1, v11 op_sel:[0,1,0] op_sel_hi:[1,1,0]
	;; [unrolled: 2-line block ×4, first 2 shown]
	v_fma_mixlo_f16 v11, v11, v19, 0 op_sel_hi:[0,1,0]
	v_add_f16_e32 v7, v7, v11
	v_fma_mix_f32 v11, v30, v0, 0 op_sel_hi:[1,1,0]
	v_fma_mix_f32 v0, v31, v0, v11 op_sel:[0,1,0] op_sel_hi:[1,1,0]
	v_fma_mix_f32 v0, v29, v1, v0 op_sel_hi:[1,1,0]
	v_fma_mix_f32 v0, v13, v1, v0 op_sel:[0,1,0] op_sel_hi:[1,1,0]
	v_fma_mix_f32 v0, v12, v2, v0 op_sel_hi:[1,1,0]
	v_fma_mix_f32 v0, v10, v2, v0 op_sel:[0,1,0] op_sel_hi:[1,1,0]
	v_fma_mix_f32 v0, v9, v3, v0 op_sel_hi:[1,1,0]
	v_fma_mix_f32 v0, v8, v3, v0 op_sel:[0,1,0] op_sel_hi:[1,1,0]
	v_fma_mixlo_f16 v0, v0, v19, 0 op_sel:[0,1,0] op_sel_hi:[0,1,0]
	v_add_f16_e32 v0, v6, v0
	v_pack_b32_f16 v37, v7, v0
	v_add_co_u32 v0, vcc_lo, v4, s2
	v_add_co_ci_u32_e64 v1, null, s3, v5, vcc_lo
	s_cbranch_scc1 .LBB38_20
.LBB38_18:                              ; =>This Inner Loop Header: Depth=1
	s_cmp_lg_u32 s18, s8
	s_cbranch_scc1 .LBB38_17
; %bb.19:                               ;   in Loop: Header=BB38_18 Depth=1
	s_add_i32 s6, s6, 1
	s_add_i32 s8, s8, s5
	s_mul_i32 s1, s6, s0
	s_ashr_i32 s9, s1, 31
	v_add_nc_u32_e32 v4, s1, v16
	s_lshr_b32 s9, s9, 30
	s_add_i32 s9, s1, s9
	v_ashrrev_i32_e32 v5, 31, v4
	s_ashr_i32 s9, s9, 2
	v_add_nc_u32_e32 v2, s9, v22
	v_lshlrev_b64 v[4:5], 1, v[4:5]
	v_ashrrev_i32_e32 v3, 31, v2
	v_lshlrev_b64 v[2:3], 2, v[2:3]
	v_add_co_u32 v2, vcc_lo, s10, v2
	v_add_co_ci_u32_e64 v3, null, s11, v3, vcc_lo
	global_load_dword v6, v[2:3], off
	v_add_co_u32 v2, vcc_lo, s12, v4
	v_add_co_ci_u32_e64 v3, null, s13, v5, vcc_lo
	global_load_dwordx2 v[18:19], v[2:3], off
	s_waitcnt vmcnt(1)
	v_and_b32_e32 v23, 0xff, v6
	v_bfe_u32 v24, v6, 8, 8
	v_bfe_u32 v25, v6, 16, 8
	v_lshrrev_b32_e32 v26, 24, v6
	s_branch .LBB38_17
.LBB38_20:
	v_mad_u64_u32 v[0:1], null, s7, s0, v[16:17]
	s_mov_b32 s1, 0
	v_ashrrev_i32_e32 v1, 31, v0
	v_lshlrev_b64 v[1:2], 1, v[0:1]
	v_add_co_u32 v1, vcc_lo, s14, v1
	v_add_co_ci_u32_e64 v2, null, s15, v2, vcc_lo
	global_load_dword v4, v[1:2], off
.LBB38_21:                              ; =>This Inner Loop Header: Depth=1
	s_waitcnt vmcnt(0)
	v_pk_add_f16 v3, v15, v4
	global_atomic_cmpswap v3, v[1:2], v[3:4], off glc
	s_waitcnt vmcnt(0)
	v_cmp_eq_u32_e32 vcc_lo, v4, v3
	v_mov_b32_e32 v4, v3
	s_or_b32 s1, vcc_lo, s1
	s_andn2_b32 exec_lo, exec_lo, s1
	s_cbranch_execnz .LBB38_21
; %bb.22:
	s_or_b32 exec_lo, exec_lo, s1
	global_load_dword v4, v[1:2], off offset:4
	s_mov_b32 s1, 0
.LBB38_23:                              ; =>This Inner Loop Header: Depth=1
	s_waitcnt vmcnt(0)
	v_pk_add_f16 v3, v14, v4
	global_atomic_cmpswap v3, v[1:2], v[3:4], off offset:4 glc
	s_waitcnt vmcnt(0)
	v_cmp_eq_u32_e32 vcc_lo, v4, v3
	v_mov_b32_e32 v4, v3
	s_or_b32 s1, vcc_lo, s1
	s_andn2_b32 exec_lo, exec_lo, s1
	s_cbranch_execnz .LBB38_23
; %bb.24:
	s_or_b32 exec_lo, exec_lo, s1
	v_add_nc_u32_e32 v0, s0, v0
	s_mov_b32 s1, 0
	v_ashrrev_i32_e32 v1, 31, v0
	v_lshlrev_b64 v[1:2], 1, v[0:1]
	v_add_co_u32 v1, vcc_lo, s14, v1
	v_add_co_ci_u32_e64 v2, null, s15, v2, vcc_lo
	global_load_dword v4, v[1:2], off
.LBB38_25:                              ; =>This Inner Loop Header: Depth=1
	s_waitcnt vmcnt(0)
	v_pk_add_f16 v3, v21, v4
	global_atomic_cmpswap v3, v[1:2], v[3:4], off glc
	s_waitcnt vmcnt(0)
	v_cmp_eq_u32_e32 vcc_lo, v4, v3
	v_mov_b32_e32 v4, v3
	s_or_b32 s1, vcc_lo, s1
	s_andn2_b32 exec_lo, exec_lo, s1
	s_cbranch_execnz .LBB38_25
; %bb.26:
	s_or_b32 exec_lo, exec_lo, s1
	global_load_dword v4, v[1:2], off offset:4
	s_mov_b32 s1, 0
.LBB38_27:                              ; =>This Inner Loop Header: Depth=1
	s_waitcnt vmcnt(0)
	v_pk_add_f16 v3, v20, v4
	global_atomic_cmpswap v3, v[1:2], v[3:4], off offset:4 glc
	s_waitcnt vmcnt(0)
	v_cmp_eq_u32_e32 vcc_lo, v4, v3
	v_mov_b32_e32 v4, v3
	s_or_b32 s1, vcc_lo, s1
	s_andn2_b32 exec_lo, exec_lo, s1
	s_cbranch_execnz .LBB38_27
; %bb.28:
	s_or_b32 exec_lo, exec_lo, s1
	v_add_nc_u32_e32 v0, s0, v0
	;; [unrolled: 33-line block ×5, first 2 shown]
	s_mov_b32 s0, 0
	v_ashrrev_i32_e32 v1, 31, v0
	v_lshlrev_b64 v[0:1], 1, v[0:1]
	v_add_co_u32 v0, vcc_lo, s14, v0
	v_add_co_ci_u32_e64 v1, null, s15, v1, vcc_lo
	global_load_dword v3, v[0:1], off
.LBB38_41:                              ; =>This Inner Loop Header: Depth=1
	s_waitcnt vmcnt(0)
	v_pk_add_f16 v2, v36, v3
	global_atomic_cmpswap v2, v[0:1], v[2:3], off glc
	s_waitcnt vmcnt(0)
	v_cmp_eq_u32_e32 vcc_lo, v3, v2
	v_mov_b32_e32 v3, v2
	s_or_b32 s0, vcc_lo, s0
	s_andn2_b32 exec_lo, exec_lo, s0
	s_cbranch_execnz .LBB38_41
; %bb.42:
	s_or_b32 exec_lo, exec_lo, s0
	global_load_dword v3, v[0:1], off offset:4
	s_mov_b32 s0, 0
.LBB38_43:                              ; =>This Inner Loop Header: Depth=1
	s_waitcnt vmcnt(0)
	v_pk_add_f16 v2, v37, v3
	global_atomic_cmpswap v2, v[0:1], v[2:3], off offset:4 glc
	s_waitcnt vmcnt(0)
	v_cmp_eq_u32_e32 vcc_lo, v3, v2
	v_mov_b32_e32 v3, v2
	s_or_b32 s0, vcc_lo, s0
	s_andn2_b32 exec_lo, exec_lo, s0
	s_cbranch_execnz .LBB38_43
.LBB38_44:
	s_endpgm
	.section	.rodata,"a",@progbits
	.p2align	6, 0x0
	.amdhsa_kernel _ZN4vllm4gptq33gemm_half_q_half_gptq_8bit_kernelILb1ELi6EEEvPK6__halfPKjS6_S4_PS2_iiiibPKi
		.amdhsa_group_segment_fixed_size 1536
		.amdhsa_private_segment_fixed_size 0
		.amdhsa_kernarg_size 72
		.amdhsa_user_sgpr_count 6
		.amdhsa_user_sgpr_private_segment_buffer 1
		.amdhsa_user_sgpr_dispatch_ptr 0
		.amdhsa_user_sgpr_queue_ptr 0
		.amdhsa_user_sgpr_kernarg_segment_ptr 1
		.amdhsa_user_sgpr_dispatch_id 0
		.amdhsa_user_sgpr_flat_scratch_init 0
		.amdhsa_user_sgpr_private_segment_size 0
		.amdhsa_wavefront_size32 1
		.amdhsa_uses_dynamic_stack 0
		.amdhsa_system_sgpr_private_segment_wavefront_offset 0
		.amdhsa_system_sgpr_workgroup_id_x 1
		.amdhsa_system_sgpr_workgroup_id_y 1
		.amdhsa_system_sgpr_workgroup_id_z 1
		.amdhsa_system_sgpr_workgroup_info 0
		.amdhsa_system_vgpr_workitem_id 0
		.amdhsa_next_free_vgpr 96
		.amdhsa_next_free_sgpr 24
		.amdhsa_reserve_vcc 1
		.amdhsa_reserve_flat_scratch 0
		.amdhsa_float_round_mode_32 0
		.amdhsa_float_round_mode_16_64 0
		.amdhsa_float_denorm_mode_32 3
		.amdhsa_float_denorm_mode_16_64 3
		.amdhsa_dx10_clamp 1
		.amdhsa_ieee_mode 1
		.amdhsa_fp16_overflow 0
		.amdhsa_workgroup_processor_mode 1
		.amdhsa_memory_ordered 1
		.amdhsa_forward_progress 1
		.amdhsa_shared_vgpr_count 0
		.amdhsa_exception_fp_ieee_invalid_op 0
		.amdhsa_exception_fp_denorm_src 0
		.amdhsa_exception_fp_ieee_div_zero 0
		.amdhsa_exception_fp_ieee_overflow 0
		.amdhsa_exception_fp_ieee_underflow 0
		.amdhsa_exception_fp_ieee_inexact 0
		.amdhsa_exception_int_div_zero 0
	.end_amdhsa_kernel
	.section	.text._ZN4vllm4gptq33gemm_half_q_half_gptq_8bit_kernelILb1ELi6EEEvPK6__halfPKjS6_S4_PS2_iiiibPKi,"axG",@progbits,_ZN4vllm4gptq33gemm_half_q_half_gptq_8bit_kernelILb1ELi6EEEvPK6__halfPKjS6_S4_PS2_iiiibPKi,comdat
.Lfunc_end38:
	.size	_ZN4vllm4gptq33gemm_half_q_half_gptq_8bit_kernelILb1ELi6EEEvPK6__halfPKjS6_S4_PS2_iiiibPKi, .Lfunc_end38-_ZN4vllm4gptq33gemm_half_q_half_gptq_8bit_kernelILb1ELi6EEEvPK6__halfPKjS6_S4_PS2_iiiibPKi
                                        ; -- End function
	.set _ZN4vllm4gptq33gemm_half_q_half_gptq_8bit_kernelILb1ELi6EEEvPK6__halfPKjS6_S4_PS2_iiiibPKi.num_vgpr, 96
	.set _ZN4vllm4gptq33gemm_half_q_half_gptq_8bit_kernelILb1ELi6EEEvPK6__halfPKjS6_S4_PS2_iiiibPKi.num_agpr, 0
	.set _ZN4vllm4gptq33gemm_half_q_half_gptq_8bit_kernelILb1ELi6EEEvPK6__halfPKjS6_S4_PS2_iiiibPKi.numbered_sgpr, 24
	.set _ZN4vllm4gptq33gemm_half_q_half_gptq_8bit_kernelILb1ELi6EEEvPK6__halfPKjS6_S4_PS2_iiiibPKi.num_named_barrier, 0
	.set _ZN4vllm4gptq33gemm_half_q_half_gptq_8bit_kernelILb1ELi6EEEvPK6__halfPKjS6_S4_PS2_iiiibPKi.private_seg_size, 0
	.set _ZN4vllm4gptq33gemm_half_q_half_gptq_8bit_kernelILb1ELi6EEEvPK6__halfPKjS6_S4_PS2_iiiibPKi.uses_vcc, 1
	.set _ZN4vllm4gptq33gemm_half_q_half_gptq_8bit_kernelILb1ELi6EEEvPK6__halfPKjS6_S4_PS2_iiiibPKi.uses_flat_scratch, 0
	.set _ZN4vllm4gptq33gemm_half_q_half_gptq_8bit_kernelILb1ELi6EEEvPK6__halfPKjS6_S4_PS2_iiiibPKi.has_dyn_sized_stack, 0
	.set _ZN4vllm4gptq33gemm_half_q_half_gptq_8bit_kernelILb1ELi6EEEvPK6__halfPKjS6_S4_PS2_iiiibPKi.has_recursion, 0
	.set _ZN4vllm4gptq33gemm_half_q_half_gptq_8bit_kernelILb1ELi6EEEvPK6__halfPKjS6_S4_PS2_iiiibPKi.has_indirect_call, 0
	.section	.AMDGPU.csdata,"",@progbits
; Kernel info:
; codeLenInByte = 12380
; TotalNumSgprs: 26
; NumVgprs: 96
; ScratchSize: 0
; MemoryBound: 0
; FloatMode: 240
; IeeeMode: 1
; LDSByteSize: 1536 bytes/workgroup (compile time only)
; SGPRBlocks: 0
; VGPRBlocks: 11
; NumSGPRsForWavesPerEU: 26
; NumVGPRsForWavesPerEU: 96
; Occupancy: 10
; WaveLimiterHint : 0
; COMPUTE_PGM_RSRC2:SCRATCH_EN: 0
; COMPUTE_PGM_RSRC2:USER_SGPR: 6
; COMPUTE_PGM_RSRC2:TRAP_HANDLER: 0
; COMPUTE_PGM_RSRC2:TGID_X_EN: 1
; COMPUTE_PGM_RSRC2:TGID_Y_EN: 1
; COMPUTE_PGM_RSRC2:TGID_Z_EN: 1
; COMPUTE_PGM_RSRC2:TIDIG_COMP_CNT: 0
	.section	.text._ZN4vllm4gptq33gemm_half_q_half_gptq_2bit_kernelILb1ELi7EEEvPK6__halfPKjS6_S4_PS2_iiiibPKi,"axG",@progbits,_ZN4vllm4gptq33gemm_half_q_half_gptq_2bit_kernelILb1ELi7EEEvPK6__halfPKjS6_S4_PS2_iiiibPKi,comdat
	.protected	_ZN4vllm4gptq33gemm_half_q_half_gptq_2bit_kernelILb1ELi7EEEvPK6__halfPKjS6_S4_PS2_iiiibPKi ; -- Begin function _ZN4vllm4gptq33gemm_half_q_half_gptq_2bit_kernelILb1ELi7EEEvPK6__halfPKjS6_S4_PS2_iiiibPKi
	.globl	_ZN4vllm4gptq33gemm_half_q_half_gptq_2bit_kernelILb1ELi7EEEvPK6__halfPKjS6_S4_PS2_iiiibPKi
	.p2align	8
	.type	_ZN4vllm4gptq33gemm_half_q_half_gptq_2bit_kernelILb1ELi7EEEvPK6__halfPKjS6_S4_PS2_iiiibPKi,@function
_ZN4vllm4gptq33gemm_half_q_half_gptq_2bit_kernelILb1ELi7EEEvPK6__halfPKjS6_S4_PS2_iiiibPKi: ; @_ZN4vllm4gptq33gemm_half_q_half_gptq_2bit_kernelILb1ELi7EEEvPK6__halfPKjS6_S4_PS2_iiiibPKi
; %bb.0:
	s_load_dwordx4 s[0:3], s[4:5], 0x2c
	s_lshl_b32 s18, s8, 7
	s_mul_i32 s7, s7, 7
	s_add_i32 s8, s18, 0x80
	s_mov_b32 s20, exec_lo
	v_cvt_f64_u32_e32 v[1:2], s8
	s_load_dwordx8 s[8:15], s[4:5], 0x8
	s_waitcnt lgkmcnt(0)
	v_cvt_f64_i32_e32 v[3:4], s1
	v_min_f64 v[1:2], v[1:2], v[3:4]
	v_cvt_i32_f64_e32 v2, v[1:2]
	v_add_nc_u32_e32 v1, s18, v0
	v_readfirstlane_b32 s19, v2
	v_cmpx_lt_u32_e64 v1, v2
	s_cbranch_execz .LBB39_16
; %bb.1:
	s_clause 0x1
	s_load_dwordx2 s[16:17], s[4:5], 0x40
	s_load_dwordx2 s[4:5], s[4:5], 0x0
	v_mov_b32_e32 v2, 0
	v_lshlrev_b64 v[3:4], 2, v[1:2]
	v_mov_b32_e32 v6, v2
	v_mov_b32_e32 v5, v1
	s_waitcnt lgkmcnt(0)
	v_add_co_u32 v3, vcc_lo, s16, v3
	v_add_co_ci_u32_e64 v4, null, s17, v4, vcc_lo
	s_cmp_lg_u64 s[16:17], 0
	s_cselect_b32 s21, -1, 0
	s_cmp_eq_u64 s[16:17], 0
	s_cbranch_scc1 .LBB39_3
; %bb.2:
	global_load_dword v5, v[3:4], off
	s_waitcnt vmcnt(0)
	v_ashrrev_i32_e32 v6, 31, v5
.LBB39_3:
	s_mul_i32 s16, s7, s1
	v_lshlrev_b64 v[5:6], 1, v[5:6]
	s_ashr_i32 s17, s16, 31
	v_cndmask_b32_e64 v8, 0, 1, s21
	s_lshl_b64 s[22:23], s[16:17], 1
	v_lshlrev_b32_e32 v7, 1, v0
	s_add_u32 s17, s4, s22
	s_addc_u32 s22, s5, s23
	v_add_co_u32 v5, vcc_lo, s17, v5
	v_add_co_ci_u32_e64 v6, null, s22, v6, vcc_lo
	s_andn2_b32 vcc_lo, exec_lo, s21
	global_load_ushort v9, v[5:6], off
	v_mov_b32_e32 v6, v2
	v_mov_b32_e32 v5, v1
	s_waitcnt vmcnt(0)
	ds_write_b16 v7, v9
	s_cbranch_vccnz .LBB39_5
; %bb.4:
	global_load_dword v5, v[3:4], off
	s_waitcnt vmcnt(0)
	v_ashrrev_i32_e32 v6, 31, v5
.LBB39_5:
	s_add_i32 s16, s16, s1
	v_lshlrev_b64 v[5:6], 1, v[5:6]
	s_ashr_i32 s17, s16, 31
	s_lshl_b64 s[22:23], s[16:17], 1
	s_add_u32 s17, s4, s22
	s_addc_u32 s21, s5, s23
	v_add_co_u32 v5, vcc_lo, s17, v5
	v_add_co_ci_u32_e64 v6, null, s21, v6, vcc_lo
	v_cmp_ne_u32_e32 vcc_lo, 1, v8
	global_load_ushort v9, v[5:6], off
	v_mov_b32_e32 v6, v2
	v_mov_b32_e32 v5, v1
	s_waitcnt vmcnt(0)
	ds_write_b16 v7, v9 offset:256
	s_cbranch_vccnz .LBB39_7
; %bb.6:
	global_load_dword v5, v[3:4], off
	s_waitcnt vmcnt(0)
	v_ashrrev_i32_e32 v6, 31, v5
.LBB39_7:
	s_add_i32 s16, s16, s1
	v_lshlrev_b64 v[5:6], 1, v[5:6]
	s_ashr_i32 s17, s16, 31
	s_lshl_b64 s[22:23], s[16:17], 1
	s_add_u32 s17, s4, s22
	s_addc_u32 s21, s5, s23
	v_add_co_u32 v5, vcc_lo, s17, v5
	v_add_co_ci_u32_e64 v6, null, s21, v6, vcc_lo
	v_cmp_ne_u32_e32 vcc_lo, 1, v8
	global_load_ushort v9, v[5:6], off
	v_mov_b32_e32 v6, v2
	v_mov_b32_e32 v5, v1
	s_waitcnt vmcnt(0)
	ds_write_b16 v7, v9 offset:512
	;; [unrolled: 20-line block ×4, first 2 shown]
	s_cbranch_vccnz .LBB39_13
; %bb.12:
	global_load_dword v5, v[3:4], off
	s_waitcnt vmcnt(0)
	v_ashrrev_i32_e32 v6, 31, v5
.LBB39_13:
	s_add_i32 s16, s16, s1
	v_lshlrev_b64 v[5:6], 1, v[5:6]
	s_ashr_i32 s17, s16, 31
	s_lshl_b64 s[22:23], s[16:17], 1
	s_add_u32 s17, s4, s22
	s_addc_u32 s21, s5, s23
	v_add_co_u32 v5, vcc_lo, s17, v5
	v_add_co_ci_u32_e64 v6, null, s21, v6, vcc_lo
	v_cmp_ne_u32_e32 vcc_lo, 1, v8
	global_load_ushort v5, v[5:6], off
	s_waitcnt vmcnt(0)
	ds_write_b16 v7, v5 offset:1280
	s_cbranch_vccnz .LBB39_15
; %bb.14:
	global_load_dword v1, v[3:4], off
	s_waitcnt vmcnt(0)
	v_ashrrev_i32_e32 v2, 31, v1
.LBB39_15:
	s_add_i32 s16, s16, s1
	v_lshlrev_b64 v[1:2], 1, v[1:2]
	s_ashr_i32 s17, s16, 31
	s_lshl_b64 s[16:17], s[16:17], 1
	s_add_u32 s4, s4, s16
	s_addc_u32 s5, s5, s17
	v_add_co_u32 v1, vcc_lo, s4, v1
	v_add_co_ci_u32_e64 v2, null, s5, v2, vcc_lo
	global_load_ushort v1, v[1:2], off
	s_waitcnt vmcnt(0)
	ds_write_b16 v7, v1 offset:1536
.LBB39_16:
	s_or_b32 exec_lo, exec_lo, s20
	v_lshlrev_b32_e32 v1, 2, v0
	s_mov_b32 s4, exec_lo
	v_lshl_add_u32 v1, s6, 9, v1
	v_cmpx_gt_i32_e64 s0, v1
	s_cbranch_execz .LBB39_50
; %bb.17:
	s_abs_i32 s5, s2
	v_mov_b32_e32 v27, 0
	v_cvt_f32_u32_e32 v2, s5
	v_mov_b32_e32 v25, 0
	v_mov_b32_e32 v24, 0
	;; [unrolled: 1-line block ×4, first 2 shown]
	v_rcp_iflag_f32_e32 v2, v2
	v_mov_b32_e32 v21, 0
	v_mov_b32_e32 v20, 0
	;; [unrolled: 1-line block ×9, first 2 shown]
	v_mul_f32_e32 v2, 0x4f7ffffe, v2
	s_cmp_ge_i32 s18, s19
	s_mov_b32 s4, 0
	s_waitcnt lgkmcnt(0)
	s_barrier
	v_cvt_u32_f32_e32 v2, v2
	buffer_gl0_inv
	v_readfirstlane_b32 s6, v2
	s_cbranch_scc1 .LBB39_22
; %bb.18:
	s_sub_i32 s16, 0, s5
	s_abs_i32 s17, s1
	s_mul_i32 s16, s16, s6
	s_ashr_i32 s1, s1, 31
	s_mul_hi_u32 s16, s6, s16
	s_ashr_i32 s2, s2, 31
	s_add_i32 s6, s6, s16
	s_xor_b32 s1, s1, s2
	s_mul_hi_u32 s6, s17, s6
	v_lshlrev_b32_e32 v8, 3, v0
	s_mul_i32 s16, s6, s5
	v_mov_b32_e32 v13, 0
	s_sub_i32 s2, s17, s16
	s_add_i32 s16, s6, 1
	s_sub_i32 s17, s2, s5
	s_cmp_ge_u32 s2, s5
	v_and_b32_e32 v28, 24, v8
	s_cselect_b32 s6, s16, s6
	s_cselect_b32 s2, s17, s2
	s_add_i32 s16, s6, 1
	s_cmp_ge_u32 s2, s5
	v_mov_b32_e32 v0, 0x10001
	s_cselect_b32 s2, s16, s6
	v_mov_b32_e32 v14, 0
	s_xor_b32 s2, s2, s1
	v_mov_b32_e32 v15, 0
	s_sub_i32 s5, s2, s1
	s_bitcmp1_b32 s3, 0
	v_cvt_f32_u32_e32 v2, s5
	s_cselect_b32 s2, -1, 0
	s_sub_i32 s3, 0, s5
	s_xor_b32 s20, s2, -1
	v_mov_b32_e32 v16, 0
	v_rcp_iflag_f32_e32 v2, v2
	v_mov_b32_e32 v17, 0
	v_mov_b32_e32 v18, 0
	;; [unrolled: 1-line block ×9, first 2 shown]
	v_mul_f32_e32 v2, 0x4f7ffffe, v2
	v_mov_b32_e32 v27, 0
	s_mov_b32 s16, 0x10001
	s_mov_b32 s17, 0x30003
	v_cvt_u32_f32_e32 v2, v2
	v_readfirstlane_b32 s1, v2
	v_ashrrev_i32_e32 v2, 31, v1
	s_mul_i32 s3, s3, s1
	v_lshrrev_b32_e32 v3, 28, v2
	s_mul_hi_u32 s3, s1, s3
	s_add_i32 s1, s1, s3
	v_add_nc_u32_e32 v3, v1, v3
	s_mul_hi_u32 s1, s18, s1
	s_mul_i32 s3, s1, s5
	s_sub_i32 s2, s18, s3
	s_add_i32 s3, s1, 1
	s_sub_i32 s6, s2, s5
	s_cmp_ge_u32 s2, s5
	v_ashrrev_i32_e32 v26, 4, v3
	s_cselect_b32 s1, s3, s1
	s_cselect_b32 s2, s6, s2
	s_add_i32 s3, s1, 1
	s_cmp_ge_u32 s2, s5
	s_cselect_b32 s6, s3, s1
	s_mul_i32 s1, s6, s0
	s_ashr_i32 s2, s1, 31
	v_add_nc_u32_e32 v5, s1, v1
	s_lshr_b32 s2, s2, 28
	s_add_i32 s2, s1, s2
	s_lshr_b32 s1, s18, 4
	s_ashr_i32 s2, s2, 4
	v_ashrrev_i32_e32 v6, 31, v5
	v_add_nc_u32_e32 v3, s2, v26
	s_mul_i32 s2, s0, s1
	s_ashr_i32 s1, s0, 31
	s_ashr_i32 s3, s2, 31
	v_ashrrev_i32_e32 v4, 31, v3
	s_lshl_b64 s[2:3], s[2:3], 2
	v_lshlrev_b64 v[3:4], 2, v[3:4]
	v_add_co_u32 v3, vcc_lo, s10, v3
	v_add_co_ci_u32_e64 v4, null, s11, v4, vcc_lo
	global_load_dword v7, v[3:4], off
	v_lshlrev_b64 v[3:4], 1, v[5:6]
	v_lshlrev_b64 v[5:6], 2, v[1:2]
	v_cndmask_b32_e64 v2, 0, 1, s20
	s_add_i32 s20, s5, s18
	s_add_u32 s8, s8, s2
	s_addc_u32 s9, s9, s3
	v_add_co_u32 v3, vcc_lo, s12, v3
	v_add_co_ci_u32_e64 v4, null, s13, v4, vcc_lo
	v_add_co_u32 v5, vcc_lo, s8, v5
	v_add_co_ci_u32_e64 v6, null, s9, v6, vcc_lo
	global_load_dwordx2 v[3:4], v[3:4], off
	v_add_co_u32 v5, vcc_lo, v5, 8
	v_add_co_ci_u32_e64 v6, null, 0, v6, vcc_lo
	s_lshl_b64 s[2:3], s[0:1], 2
	s_mov_b32 s1, 0xc000c
	s_mov_b32 s8, 0x300030
	;; [unrolled: 1-line block ×3, first 2 shown]
	s_waitcnt vmcnt(1)
	v_lshrrev_b32_e32 v8, v8, v7
	v_bfe_u32 v29, v7, v28, 2
	v_bfe_u32 v30, v8, 2, 2
	v_bfe_u32 v31, v8, 4, 2
	v_bfe_u32 v32, v8, 6, 2
	s_branch .LBB39_20
.LBB39_19:                              ;   in Loop: Header=BB39_20 Depth=1
	global_load_dwordx4 v[7:10], v[5:6], off offset:-8
	v_add_nc_u32_e32 v33, v30, v2
	v_add_nc_u32_e32 v12, v29, v2
	;; [unrolled: 1-line block ×4, first 2 shown]
	v_mov_b32_e32 v11, s4
	v_cvt_f32_i32_e32 v37, v33
	v_cvt_f32_i32_e32 v36, v12
	v_and_b32_e32 v33, 0x1bff, v33
	v_cvt_f32_i32_e32 v40, v34
	v_cvt_f32_i32_e32 v41, v35
	v_cvt_f16_f32_e32 v39, v37
	ds_read2_b32 v[56:57], v11 offset1:1
	ds_read2_b32 v[58:59], v11 offset0:64 offset1:65
	ds_read2_b32 v[69:70], v11 offset0:128 offset1:129
	v_and_b32_e32 v12, 0x1bff, v12
	v_and_b32_e32 v34, 0x1bff, v34
	v_cvt_f16_f32_e32 v38, v36
	v_mad_u32_u24 v42, v33, s16, 0xe400e400
	v_cvt_f16_f32_e32 v40, v40
	v_cvt_f16_f32_e32 v37, v41
	v_sub_f16_e32 v33, 0xdc00, v39
	v_and_b32_e32 v35, 0x1bff, v35
	v_mad_u32_u24 v44, v12, s16, 0xe400e400
	v_mad_u32_u24 v41, v34, s16, 0xe400e400
	v_sub_f16_e32 v12, 0xdc00, v38
	v_sub_f16_e32 v34, 0xdc00, v40
	v_sub_f16_e32 v36, 0xdc00, v37
	v_mul_u32_u24_sdwa v54, v33, v0 dst_sel:DWORD dst_unused:UNUSED_PAD src0_sel:WORD_0 src1_sel:DWORD
	v_mad_u32_u24 v43, v35, s16, 0xe400e400
	v_mul_u32_u24_sdwa v55, v12, v0 dst_sel:DWORD dst_unused:UNUSED_PAD src0_sel:WORD_0 src1_sel:DWORD
	v_mul_u32_u24_sdwa v52, v34, v0 dst_sel:DWORD dst_unused:UNUSED_PAD src0_sel:WORD_0 src1_sel:DWORD
	;; [unrolled: 1-line block ×3, first 2 shown]
	s_add_i32 s21, s4, 0x400
	v_sub_f16_e32 v93, 0xd400, v37
	v_sub_f16_e32 v37, 0xcc00, v37
	v_add_co_u32 v5, vcc_lo, v5, s2
	v_add_co_ci_u32_e64 v6, null, s3, v6, vcc_lo
	s_add_i32 s18, s18, 16
	s_waitcnt vmcnt(0)
	v_and_or_b32 v33, v7, s17, 0x64006400
	v_and_or_b32 v34, v7, s1, 0x64006400
	;; [unrolled: 1-line block ×4, first 2 shown]
	v_lshrrev_b32_e32 v12, 8, v7
	v_and_or_b32 v35, v8, s17, 0x64006400
	v_and_or_b32 v36, v8, s1, 0x64006400
	;; [unrolled: 1-line block ×4, first 2 shown]
	v_pk_add_f16 v7, v44, v33
	v_and_or_b32 v50, v8, s8, 0x64006400
	v_and_or_b32 v68, v8, s9, 0x64006400
	v_lshrrev_b32_e32 v45, 8, v8
	v_and_or_b32 v60, v9, s1, 0x64006400
	v_and_or_b32 v77, v9, s8, 0x64006400
	;; [unrolled: 1-line block ×3, first 2 shown]
	v_lshrrev_b32_e32 v47, 8, v9
	v_and_or_b32 v62, v10, s1, 0x64006400
	v_and_or_b32 v79, v10, s8, 0x64006400
	;; [unrolled: 1-line block ×3, first 2 shown]
	v_lshrrev_b32_e32 v53, 8, v10
	v_pk_fma_f16 v8, 0x3400, v34, v55 op_sel_hi:[0,1,1]
	v_pk_add_f16 v9, v42, v35
	v_pk_fma_f16 v10, 0x3400, v36, v54 op_sel_hi:[0,1,1]
	v_pk_add_f16 v36, v41, v48
	v_pk_add_f16 v35, v43, v61
	s_waitcnt lgkmcnt(2)
	v_pk_fma_f16 v48, v7, v56, 0
	v_pk_fma_f16 v33, 0x3400, v60, v52 op_sel_hi:[0,1,1]
	v_pk_fma_f16 v34, 0x3400, v62, v51 op_sel_hi:[0,1,1]
	v_pk_fma_f16 v60, v9, v56, 0
	v_pk_fma_f16 v61, v36, v56, 0
	;; [unrolled: 1-line block ×3, first 2 shown]
	s_waitcnt lgkmcnt(1)
	v_pk_fma_f16 v62, v7, v58, 0
	v_pk_fma_f16 v64, v8, v57, v48
	v_pk_fma_f16 v48, v36, v58, 0
	v_pk_fma_f16 v63, v9, v58, 0
	v_pk_fma_f16 v65, v10, v57, v60
	v_pk_fma_f16 v67, v34, v57, v56
	v_pk_fma_f16 v56, v35, v58, 0
	v_pk_fma_f16 v60, v8, v59, v62
	v_pk_fma_f16 v62, v33, v59, v48
	s_waitcnt lgkmcnt(0)
	v_pk_fma_f16 v48, v7, v69, 0
	v_pk_fma_f16 v66, v33, v57, v61
	;; [unrolled: 1-line block ×11, first 2 shown]
	ds_read2_b32 v[69:70], v11 offset0:192 offset1:193
	s_waitcnt lgkmcnt(0)
	v_pk_fma_f16 v48, v7, v69, 0
	v_pk_fma_f16 v81, v8, v70, v48
	;; [unrolled: 1-line block ×8, first 2 shown]
	v_mov_b32_e32 v48, s21
	s_add_i32 s21, s4, 0x500
	ds_read2_b32 v[69:70], v48 offset1:1
	s_waitcnt lgkmcnt(0)
	v_pk_fma_f16 v48, v7, v69, 0
	v_pk_fma_f16 v82, v8, v70, v48
	;; [unrolled: 1-line block ×8, first 2 shown]
	v_mov_b32_e32 v48, s21
	s_add_i32 s21, s4, 0x408
	ds_read2_b32 v[69:70], v48 offset1:1
	s_waitcnt lgkmcnt(0)
	v_pk_fma_f16 v48, v7, v69, 0
	v_pk_fma_f16 v83, v8, v70, v48
	;; [unrolled: 1-line block ×7, first 2 shown]
	v_sub_f16_e32 v69, 0xd400, v39
	v_sub_f16_e32 v39, 0xcc00, v39
	v_pk_fma_f16 v92, v34, v70, v48
	v_sub_f16_e32 v70, 0xd400, v40
	v_sub_f16_e32 v40, 0xcc00, v40
	;; [unrolled: 1-line block ×4, first 2 shown]
	v_mul_u32_u24_sdwa v73, v69, v0 dst_sel:DWORD dst_unused:UNUSED_PAD src0_sel:WORD_0 src1_sel:DWORD
	v_mul_u32_u24_sdwa v76, v70, v0 dst_sel:DWORD dst_unused:UNUSED_PAD src0_sel:WORD_0 src1_sel:DWORD
	;; [unrolled: 1-line block ×6, first 2 shown]
	v_pk_fma_f16 v40, 0x2c00, v77, v76 op_sel_hi:[0,1,1]
	v_pk_fma_f16 v38, 0x2400, v78, v75 op_sel_hi:[0,1,1]
	ds_read2_b32 v[77:78], v11 offset0:2 offset1:3
	v_mul_u32_u24_sdwa v70, v93, v0 dst_sel:DWORD dst_unused:UNUSED_PAD src0_sel:WORD_0 src1_sel:DWORD
	v_pk_fma_f16 v48, 0x2c00, v46, v74 op_sel_hi:[0,1,1]
	v_pk_fma_f16 v50, 0x2c00, v50, v73 op_sel_hi:[0,1,1]
	;; [unrolled: 1-line block ×5, first 2 shown]
	v_mul_u32_u24_sdwa v69, v37, v0 dst_sel:DWORD dst_unused:UNUSED_PAD src0_sel:WORD_0 src1_sel:DWORD
	v_pk_fma_f16 v37, 0x2400, v80, v69 op_sel_hi:[0,1,1]
	s_waitcnt lgkmcnt(0)
	v_pk_fma_f16 v64, v48, v77, v64
	v_pk_fma_f16 v65, v50, v77, v65
	v_pk_fma_f16 v66, v40, v77, v66
	v_pk_fma_f16 v67, v39, v77, v67
	v_pk_fma_f16 v77, v46, v78, v64
	v_pk_fma_f16 v79, v49, v78, v65
	ds_read2_b32 v[64:65], v11 offset0:66 offset1:67
	v_pk_fma_f16 v80, v38, v78, v66
	v_pk_fma_f16 v78, v37, v78, v67
	s_waitcnt lgkmcnt(0)
	v_pk_fma_f16 v60, v48, v64, v60
	v_pk_fma_f16 v61, v50, v64, v61
	v_pk_fma_f16 v62, v40, v64, v62
	v_pk_fma_f16 v63, v39, v64, v63
	v_pk_fma_f16 v64, v46, v65, v60
	v_pk_fma_f16 v93, v49, v65, v61
	ds_read2_b32 v[60:61], v11 offset0:130 offset1:131
	v_pk_fma_f16 v62, v38, v65, v62
	v_pk_fma_f16 v63, v37, v65, v63
	;; [unrolled: 10-line block ×3, first 2 shown]
	s_waitcnt lgkmcnt(0)
	v_pk_fma_f16 v61, v48, v56, v81
	v_pk_fma_f16 v66, v50, v56, v84
	;; [unrolled: 1-line block ×8, first 2 shown]
	v_mov_b32_e32 v56, s21
	s_add_i32 s21, s4, 0x508
	ds_read2_b32 v[56:57], v56 offset1:1
	s_waitcnt lgkmcnt(0)
	v_pk_fma_f16 v61, v48, v56, v82
	v_pk_fma_f16 v66, v50, v56, v85
	;; [unrolled: 1-line block ×8, first 2 shown]
	v_mov_b32_e32 v56, s21
	s_add_i32 s21, s4, 0x410
	ds_read2_b32 v[56:57], v56 offset1:1
	s_waitcnt lgkmcnt(0)
	v_pk_fma_f16 v61, v48, v56, v83
	v_pk_fma_f16 v66, v50, v56, v86
	;; [unrolled: 1-line block ×8, first 2 shown]
	v_and_or_b32 v57, v12, s17, 0x64006400
	v_pk_add_f16 v66, v44, v57
	v_and_or_b32 v44, v12, s1, 0x64006400
	v_pk_fma_f16 v67, 0x3400, v44, v55 op_sel_hi:[0,1,1]
	v_and_or_b32 v44, v45, s17, 0x64006400
	v_pk_add_f16 v68, v42, v44
	v_and_or_b32 v42, v45, s1, 0x64006400
	v_pk_fma_f16 v61, 0x3400, v42, v54 op_sel_hi:[0,1,1]
	;; [unrolled: 4-line block ×4, first 2 shown]
	ds_read2_b32 v[51:52], v11 offset0:4 offset1:5
	s_waitcnt lgkmcnt(0)
	v_pk_fma_f16 v54, v66, v51, v77
	v_pk_fma_f16 v55, v68, v51, v79
	v_pk_fma_f16 v57, v44, v51, v80
	v_pk_fma_f16 v51, v43, v51, v78
	v_pk_fma_f16 v77, v67, v52, v54
	v_pk_fma_f16 v55, v61, v52, v55
	v_pk_fma_f16 v57, v42, v52, v57
	v_pk_fma_f16 v78, v41, v52, v51
	ds_read2_b32 v[51:52], v11 offset0:68 offset1:69
	s_waitcnt lgkmcnt(0)
	v_pk_fma_f16 v54, v66, v51, v64
	v_pk_fma_f16 v64, v68, v51, v93
	v_pk_fma_f16 v62, v44, v51, v62
	v_pk_fma_f16 v51, v43, v51, v63
	v_pk_fma_f16 v79, v67, v52, v54
	v_pk_fma_f16 v80, v61, v52, v64
	v_pk_fma_f16 v93, v42, v52, v62
	v_pk_fma_f16 v94, v41, v52, v51
	;; [unrolled: 10-line block ×4, first 2 shown]
	v_mov_b32_e32 v51, s21
	s_add_i32 s21, s4, 0x510
	ds_read2_b32 v[51:52], v51 offset1:1
	s_waitcnt lgkmcnt(0)
	v_pk_fma_f16 v54, v66, v51, v82
	v_pk_fma_f16 v58, v68, v51, v85
	;; [unrolled: 1-line block ×8, first 2 shown]
	v_mov_b32_e32 v51, s21
	s_add_i32 s21, s4, 0x418
	ds_read2_b32 v[51:52], v51 offset1:1
	s_waitcnt lgkmcnt(0)
	v_pk_fma_f16 v54, v66, v51, v86
	v_pk_fma_f16 v58, v68, v51, v89
	;; [unrolled: 1-line block ×8, first 2 shown]
	v_and_or_b32 v51, v12, s8, 0x64006400
	v_and_or_b32 v12, v12, s9, 0x64006400
	v_pk_fma_f16 v74, 0x2c00, v51, v74 op_sel_hi:[0,1,1]
	v_pk_fma_f16 v71, 0x2400, v12, v71 op_sel_hi:[0,1,1]
	v_and_or_b32 v12, v45, s8, 0x64006400
	v_pk_fma_f16 v73, 0x2c00, v12, v73 op_sel_hi:[0,1,1]
	v_and_or_b32 v12, v45, s9, 0x64006400
	v_pk_fma_f16 v72, 0x2400, v12, v72 op_sel_hi:[0,1,1]
	v_and_or_b32 v12, v47, s8, 0x64006400
	v_pk_fma_f16 v51, 0x2c00, v12, v76 op_sel_hi:[0,1,1]
	v_and_or_b32 v12, v47, s9, 0x64006400
	v_pk_fma_f16 v45, 0x2400, v12, v75 op_sel_hi:[0,1,1]
	v_and_or_b32 v12, v53, s8, 0x64006400
	v_pk_fma_f16 v52, 0x2c00, v12, v70 op_sel_hi:[0,1,1]
	v_and_or_b32 v12, v53, s9, 0x64006400
	ds_read2_b32 v[53:54], v11 offset0:6 offset1:7
	v_pk_fma_f16 v47, 0x2400, v12, v69 op_sel_hi:[0,1,1]
	s_waitcnt lgkmcnt(0)
	v_pk_fma_f16 v55, v73, v53, v55
	v_pk_fma_f16 v56, v51, v53, v57
	;; [unrolled: 1-line block ×6, first 2 shown]
	ds_read2_b32 v[55:56], v11 offset0:70 offset1:71
	v_pk_fma_f16 v75, v71, v54, v12
	v_pk_fma_f16 v54, v47, v54, v57
	s_waitcnt lgkmcnt(0)
	v_pk_fma_f16 v57, v73, v55, v80
	v_pk_fma_f16 v58, v51, v55, v93
	;; [unrolled: 1-line block ×7, first 2 shown]
	ds_read2_b32 v[58:59], v11 offset0:134 offset1:135
	v_pk_fma_f16 v77, v71, v56, v12
	s_waitcnt lgkmcnt(0)
	v_pk_fma_f16 v12, v74, v58, v95
	v_pk_fma_f16 v56, v73, v58, v60
	;; [unrolled: 1-line block ×5, first 2 shown]
	ds_read2_b32 v[11:12], v11 offset0:198 offset1:199
	v_pk_fma_f16 v80, v72, v59, v56
	v_pk_fma_f16 v56, v45, v59, v60
	v_pk_fma_f16 v58, v47, v59, v58
	s_waitcnt lgkmcnt(0)
	v_pk_fma_f16 v59, v74, v11, v81
	v_pk_fma_f16 v60, v73, v11, v87
	v_pk_fma_f16 v69, v51, v11, v90
	v_pk_fma_f16 v11, v52, v11, v98
	v_pk_fma_f16 v81, v71, v12, v59
	v_pk_fma_f16 v82, v72, v12, v60
	v_pk_fma_f16 v59, v45, v12, v69
	v_pk_fma_f16 v60, v47, v12, v11
	v_mov_b32_e32 v11, s21
	s_add_i32 s21, s4, 0x518
	ds_read2_b32 v[11:12], v11 offset1:1
	s_waitcnt lgkmcnt(0)
	v_pk_fma_f16 v62, v74, v11, v62
	v_pk_fma_f16 v63, v73, v11, v63
	v_pk_fma_f16 v69, v51, v11, v83
	v_pk_fma_f16 v11, v52, v11, v84
	v_pk_fma_f16 v83, v71, v12, v62
	v_pk_fma_f16 v84, v72, v12, v63
	v_pk_fma_f16 v62, v45, v12, v69
	v_pk_fma_f16 v63, v47, v12, v11
	v_mov_b32_e32 v11, s21
	s_add_i32 s21, s4, 0x600
	ds_read2_b32 v[11:12], v11 offset1:1
	;; [unrolled: 12-line block ×3, first 2 shown]
	s_waitcnt lgkmcnt(0)
	v_pk_fma_f16 v7, v7, v85, 0
	v_pk_fma_f16 v36, v36, v85, 0
	;; [unrolled: 1-line block ×5, first 2 shown]
	v_mov_b32_e32 v9, s21
	s_add_i32 s21, s4, 0x610
	v_pk_fma_f16 v33, v33, v86, v36
	v_pk_fma_f16 v34, v34, v86, v35
	v_pk_fma_f16 v8, v10, v86, v8
	ds_read2_b32 v[11:12], v9 offset1:1
	v_mov_b32_e32 v9, s21
	s_add_i32 s21, s4, 0x618
	v_pack_b32_f16 v35, v83, v84
	v_perm_b32 v36, v84, v83, 0x7060302
	s_add_i32 s4, s4, 32
	ds_read2_b32 v[9:10], v9 offset1:1
	s_cmp_ge_i32 s18, s19
	v_pk_add_f16 v35, v35, v36
	v_perm_b32 v36, v57, v55, 0x7060302
	v_pk_fma_f16 v18, v35, v3, v18
	v_pack_b32_f16 v35, v55, v57
	s_waitcnt lgkmcnt(1)
	v_pk_fma_f16 v7, v48, v11, v7
	v_pk_fma_f16 v8, v50, v11, v8
	v_perm_b32 v50, v76, v75, 0x7060302
	v_pk_fma_f16 v33, v40, v11, v33
	v_pk_fma_f16 v11, v39, v11, v34
	;; [unrolled: 1-line block ×4, first 2 shown]
	v_pack_b32_f16 v49, v75, v76
	v_perm_b32 v34, v70, v69, 0x7060302
	v_pk_fma_f16 v33, v38, v12, v33
	s_waitcnt lgkmcnt(0)
	v_pk_fma_f16 v7, v66, v9, v7
	v_pk_fma_f16 v46, v68, v9, v8
	v_perm_b32 v66, v78, v77, 0x7060302
	v_pack_b32_f16 v68, v79, v80
	v_pk_add_f16 v49, v49, v50
	v_pk_fma_f16 v48, v67, v10, v7
	v_mov_b32_e32 v7, s21
	v_pk_fma_f16 v46, v61, v10, v46
	v_pack_b32_f16 v61, v77, v78
	v_pk_fma_f16 v11, v37, v12, v11
	v_pk_fma_f16 v33, v44, v9, v33
	ds_read2_b32 v[7:8], v7 offset1:1
	v_pk_fma_f16 v27, v49, v3, v27
	v_pk_add_f16 v50, v61, v66
	v_pk_fma_f16 v9, v43, v9, v11
	v_pk_fma_f16 v33, v42, v10, v33
	v_pack_b32_f16 v49, v81, v82
	v_pk_fma_f16 v24, v50, v3, v24
	v_pk_fma_f16 v9, v41, v10, v9
	v_pack_b32_f16 v10, v53, v54
	v_perm_b32 v50, v82, v81, 0x7060302
	v_pk_add_f16 v39, v49, v50
	s_waitcnt lgkmcnt(0)
	v_pk_fma_f16 v67, v73, v7, v46
	v_perm_b32 v73, v80, v79, 0x7060302
	v_pk_fma_f16 v48, v74, v7, v48
	v_pk_fma_f16 v20, v39, v3, v20
	v_pk_add_f16 v61, v68, v73
	v_pk_fma_f16 v46, v71, v8, v48
	v_pk_fma_f16 v48, v72, v8, v67
	;; [unrolled: 1-line block ×3, first 2 shown]
	v_pack_b32_f16 v61, v69, v70
	v_pack_b32_f16 v11, v46, v48
	v_pk_add_f16 v12, v61, v34
	v_perm_b32 v34, v54, v53, 0x7060302
	v_pk_fma_f16 v16, v12, v3, v16
	v_perm_b32 v12, v48, v46, 0x7060302
	v_pk_add_f16 v11, v11, v12
	v_pk_fma_f16 v12, v51, v7, v33
	v_pk_fma_f16 v7, v52, v7, v9
	v_pk_add_f16 v9, v10, v34
	v_pk_add_f16 v10, v35, v36
	v_pk_fma_f16 v14, v11, v3, v14
	v_pk_fma_f16 v11, v45, v8, v12
	;; [unrolled: 1-line block ×5, first 2 shown]
	v_pack_b32_f16 v8, v56, v58
	v_perm_b32 v9, v58, v56, 0x7060302
	v_pack_b32_f16 v10, v59, v60
	v_perm_b32 v12, v60, v59, 0x7060302
	v_pack_b32_f16 v33, v62, v63
	v_perm_b32 v34, v63, v62, 0x7060302
	v_pack_b32_f16 v35, v64, v65
	v_perm_b32 v36, v65, v64, 0x7060302
	v_pack_b32_f16 v37, v11, v7
	v_perm_b32 v7, v7, v11, 0x7060302
	v_pk_add_f16 v8, v8, v9
	v_pk_add_f16 v9, v10, v12
	;; [unrolled: 1-line block ×5, first 2 shown]
	v_pk_fma_f16 v21, v8, v4, v21
	v_pk_fma_f16 v19, v9, v4, v19
	;; [unrolled: 1-line block ×5, first 2 shown]
	s_cbranch_scc1 .LBB39_22
.LBB39_20:                              ; =>This Inner Loop Header: Depth=1
	s_cmp_lg_u32 s18, s20
	s_cbranch_scc1 .LBB39_19
; %bb.21:                               ;   in Loop: Header=BB39_20 Depth=1
	s_add_i32 s6, s6, 1
	s_add_i32 s20, s20, s5
	s_mul_i32 s21, s6, s0
	s_ashr_i32 s22, s21, 31
	v_add_nc_u32_e32 v7, s21, v1
	s_lshr_b32 s22, s22, 28
	s_add_i32 s22, s21, s22
	v_ashrrev_i32_e32 v8, 31, v7
	s_ashr_i32 s22, s22, 4
	s_waitcnt vmcnt(0)
	v_add_nc_u32_e32 v3, s22, v26
	v_lshlrev_b64 v[7:8], 1, v[7:8]
	v_ashrrev_i32_e32 v4, 31, v3
	v_lshlrev_b64 v[3:4], 2, v[3:4]
	v_add_co_u32 v3, vcc_lo, s10, v3
	v_add_co_ci_u32_e64 v4, null, s11, v4, vcc_lo
	global_load_dword v9, v[3:4], off
	v_add_co_u32 v3, vcc_lo, s12, v7
	v_add_co_ci_u32_e64 v4, null, s13, v8, vcc_lo
	global_load_dwordx2 v[3:4], v[3:4], off
	s_waitcnt vmcnt(1)
	v_lshrrev_b32_e32 v7, v28, v9
	v_bfe_u32 v29, v9, v28, 2
	v_bfe_u32 v30, v7, 2, 2
	;; [unrolled: 1-line block ×4, first 2 shown]
	s_branch .LBB39_19
.LBB39_22:
	v_mad_u64_u32 v[0:1], null, s7, s0, v[1:2]
	s_mov_b32 s1, 0
	v_ashrrev_i32_e32 v1, 31, v0
	v_lshlrev_b64 v[1:2], 1, v[0:1]
	v_add_co_u32 v1, vcc_lo, s14, v1
	v_add_co_ci_u32_e64 v2, null, s15, v2, vcc_lo
	global_load_dword v4, v[1:2], off
.LBB39_23:                              ; =>This Inner Loop Header: Depth=1
	s_waitcnt vmcnt(0)
	v_pk_add_f16 v3, v27, v4
	global_atomic_cmpswap v3, v[1:2], v[3:4], off glc
	s_waitcnt vmcnt(0)
	v_cmp_eq_u32_e32 vcc_lo, v4, v3
	v_mov_b32_e32 v4, v3
	s_or_b32 s1, vcc_lo, s1
	s_andn2_b32 exec_lo, exec_lo, s1
	s_cbranch_execnz .LBB39_23
; %bb.24:
	s_or_b32 exec_lo, exec_lo, s1
	global_load_dword v4, v[1:2], off offset:4
	s_mov_b32 s1, 0
.LBB39_25:                              ; =>This Inner Loop Header: Depth=1
	s_waitcnt vmcnt(0)
	v_pk_add_f16 v3, v25, v4
	global_atomic_cmpswap v3, v[1:2], v[3:4], off offset:4 glc
	s_waitcnt vmcnt(0)
	v_cmp_eq_u32_e32 vcc_lo, v4, v3
	v_mov_b32_e32 v4, v3
	s_or_b32 s1, vcc_lo, s1
	s_andn2_b32 exec_lo, exec_lo, s1
	s_cbranch_execnz .LBB39_25
; %bb.26:
	s_or_b32 exec_lo, exec_lo, s1
	v_add_nc_u32_e32 v0, s0, v0
	s_mov_b32 s1, 0
	v_ashrrev_i32_e32 v1, 31, v0
	v_lshlrev_b64 v[1:2], 1, v[0:1]
	v_add_co_u32 v1, vcc_lo, s14, v1
	v_add_co_ci_u32_e64 v2, null, s15, v2, vcc_lo
	global_load_dword v4, v[1:2], off
.LBB39_27:                              ; =>This Inner Loop Header: Depth=1
	s_waitcnt vmcnt(0)
	v_pk_add_f16 v3, v24, v4
	global_atomic_cmpswap v3, v[1:2], v[3:4], off glc
	s_waitcnt vmcnt(0)
	v_cmp_eq_u32_e32 vcc_lo, v4, v3
	v_mov_b32_e32 v4, v3
	s_or_b32 s1, vcc_lo, s1
	s_andn2_b32 exec_lo, exec_lo, s1
	s_cbranch_execnz .LBB39_27
; %bb.28:
	s_or_b32 exec_lo, exec_lo, s1
	global_load_dword v4, v[1:2], off offset:4
	s_mov_b32 s1, 0
.LBB39_29:                              ; =>This Inner Loop Header: Depth=1
	s_waitcnt vmcnt(0)
	v_pk_add_f16 v3, v23, v4
	global_atomic_cmpswap v3, v[1:2], v[3:4], off offset:4 glc
	s_waitcnt vmcnt(0)
	v_cmp_eq_u32_e32 vcc_lo, v4, v3
	v_mov_b32_e32 v4, v3
	s_or_b32 s1, vcc_lo, s1
	s_andn2_b32 exec_lo, exec_lo, s1
	s_cbranch_execnz .LBB39_29
; %bb.30:
	s_or_b32 exec_lo, exec_lo, s1
	v_add_nc_u32_e32 v0, s0, v0
	;; [unrolled: 33-line block ×6, first 2 shown]
	s_mov_b32 s0, 0
	v_ashrrev_i32_e32 v1, 31, v0
	v_lshlrev_b64 v[0:1], 1, v[0:1]
	v_add_co_u32 v0, vcc_lo, s14, v0
	v_add_co_ci_u32_e64 v1, null, s15, v1, vcc_lo
	global_load_dword v3, v[0:1], off
.LBB39_47:                              ; =>This Inner Loop Header: Depth=1
	s_waitcnt vmcnt(0)
	v_pk_add_f16 v2, v14, v3
	global_atomic_cmpswap v2, v[0:1], v[2:3], off glc
	s_waitcnt vmcnt(0)
	v_cmp_eq_u32_e32 vcc_lo, v3, v2
	v_mov_b32_e32 v3, v2
	s_or_b32 s0, vcc_lo, s0
	s_andn2_b32 exec_lo, exec_lo, s0
	s_cbranch_execnz .LBB39_47
; %bb.48:
	s_or_b32 exec_lo, exec_lo, s0
	global_load_dword v3, v[0:1], off offset:4
	s_mov_b32 s0, 0
.LBB39_49:                              ; =>This Inner Loop Header: Depth=1
	s_waitcnt vmcnt(0)
	v_pk_add_f16 v2, v13, v3
	global_atomic_cmpswap v2, v[0:1], v[2:3], off offset:4 glc
	s_waitcnt vmcnt(0)
	v_cmp_eq_u32_e32 vcc_lo, v3, v2
	v_mov_b32_e32 v3, v2
	s_or_b32 s0, vcc_lo, s0
	s_andn2_b32 exec_lo, exec_lo, s0
	s_cbranch_execnz .LBB39_49
.LBB39_50:
	s_endpgm
	.section	.rodata,"a",@progbits
	.p2align	6, 0x0
	.amdhsa_kernel _ZN4vllm4gptq33gemm_half_q_half_gptq_2bit_kernelILb1ELi7EEEvPK6__halfPKjS6_S4_PS2_iiiibPKi
		.amdhsa_group_segment_fixed_size 1792
		.amdhsa_private_segment_fixed_size 0
		.amdhsa_kernarg_size 72
		.amdhsa_user_sgpr_count 6
		.amdhsa_user_sgpr_private_segment_buffer 1
		.amdhsa_user_sgpr_dispatch_ptr 0
		.amdhsa_user_sgpr_queue_ptr 0
		.amdhsa_user_sgpr_kernarg_segment_ptr 1
		.amdhsa_user_sgpr_dispatch_id 0
		.amdhsa_user_sgpr_flat_scratch_init 0
		.amdhsa_user_sgpr_private_segment_size 0
		.amdhsa_wavefront_size32 1
		.amdhsa_uses_dynamic_stack 0
		.amdhsa_system_sgpr_private_segment_wavefront_offset 0
		.amdhsa_system_sgpr_workgroup_id_x 1
		.amdhsa_system_sgpr_workgroup_id_y 1
		.amdhsa_system_sgpr_workgroup_id_z 1
		.amdhsa_system_sgpr_workgroup_info 0
		.amdhsa_system_vgpr_workitem_id 0
		.amdhsa_next_free_vgpr 99
		.amdhsa_next_free_sgpr 24
		.amdhsa_reserve_vcc 1
		.amdhsa_reserve_flat_scratch 0
		.amdhsa_float_round_mode_32 0
		.amdhsa_float_round_mode_16_64 0
		.amdhsa_float_denorm_mode_32 3
		.amdhsa_float_denorm_mode_16_64 3
		.amdhsa_dx10_clamp 1
		.amdhsa_ieee_mode 1
		.amdhsa_fp16_overflow 0
		.amdhsa_workgroup_processor_mode 1
		.amdhsa_memory_ordered 1
		.amdhsa_forward_progress 1
		.amdhsa_shared_vgpr_count 0
		.amdhsa_exception_fp_ieee_invalid_op 0
		.amdhsa_exception_fp_denorm_src 0
		.amdhsa_exception_fp_ieee_div_zero 0
		.amdhsa_exception_fp_ieee_overflow 0
		.amdhsa_exception_fp_ieee_underflow 0
		.amdhsa_exception_fp_ieee_inexact 0
		.amdhsa_exception_int_div_zero 0
	.end_amdhsa_kernel
	.section	.text._ZN4vllm4gptq33gemm_half_q_half_gptq_2bit_kernelILb1ELi7EEEvPK6__halfPKjS6_S4_PS2_iiiibPKi,"axG",@progbits,_ZN4vllm4gptq33gemm_half_q_half_gptq_2bit_kernelILb1ELi7EEEvPK6__halfPKjS6_S4_PS2_iiiibPKi,comdat
.Lfunc_end39:
	.size	_ZN4vllm4gptq33gemm_half_q_half_gptq_2bit_kernelILb1ELi7EEEvPK6__halfPKjS6_S4_PS2_iiiibPKi, .Lfunc_end39-_ZN4vllm4gptq33gemm_half_q_half_gptq_2bit_kernelILb1ELi7EEEvPK6__halfPKjS6_S4_PS2_iiiibPKi
                                        ; -- End function
	.set _ZN4vllm4gptq33gemm_half_q_half_gptq_2bit_kernelILb1ELi7EEEvPK6__halfPKjS6_S4_PS2_iiiibPKi.num_vgpr, 99
	.set _ZN4vllm4gptq33gemm_half_q_half_gptq_2bit_kernelILb1ELi7EEEvPK6__halfPKjS6_S4_PS2_iiiibPKi.num_agpr, 0
	.set _ZN4vllm4gptq33gemm_half_q_half_gptq_2bit_kernelILb1ELi7EEEvPK6__halfPKjS6_S4_PS2_iiiibPKi.numbered_sgpr, 24
	.set _ZN4vllm4gptq33gemm_half_q_half_gptq_2bit_kernelILb1ELi7EEEvPK6__halfPKjS6_S4_PS2_iiiibPKi.num_named_barrier, 0
	.set _ZN4vllm4gptq33gemm_half_q_half_gptq_2bit_kernelILb1ELi7EEEvPK6__halfPKjS6_S4_PS2_iiiibPKi.private_seg_size, 0
	.set _ZN4vllm4gptq33gemm_half_q_half_gptq_2bit_kernelILb1ELi7EEEvPK6__halfPKjS6_S4_PS2_iiiibPKi.uses_vcc, 1
	.set _ZN4vllm4gptq33gemm_half_q_half_gptq_2bit_kernelILb1ELi7EEEvPK6__halfPKjS6_S4_PS2_iiiibPKi.uses_flat_scratch, 0
	.set _ZN4vllm4gptq33gemm_half_q_half_gptq_2bit_kernelILb1ELi7EEEvPK6__halfPKjS6_S4_PS2_iiiibPKi.has_dyn_sized_stack, 0
	.set _ZN4vllm4gptq33gemm_half_q_half_gptq_2bit_kernelILb1ELi7EEEvPK6__halfPKjS6_S4_PS2_iiiibPKi.has_recursion, 0
	.set _ZN4vllm4gptq33gemm_half_q_half_gptq_2bit_kernelILb1ELi7EEEvPK6__halfPKjS6_S4_PS2_iiiibPKi.has_indirect_call, 0
	.section	.AMDGPU.csdata,"",@progbits
; Kernel info:
; codeLenInByte = 6624
; TotalNumSgprs: 26
; NumVgprs: 99
; ScratchSize: 0
; MemoryBound: 0
; FloatMode: 240
; IeeeMode: 1
; LDSByteSize: 1792 bytes/workgroup (compile time only)
; SGPRBlocks: 0
; VGPRBlocks: 12
; NumSGPRsForWavesPerEU: 26
; NumVGPRsForWavesPerEU: 99
; Occupancy: 9
; WaveLimiterHint : 0
; COMPUTE_PGM_RSRC2:SCRATCH_EN: 0
; COMPUTE_PGM_RSRC2:USER_SGPR: 6
; COMPUTE_PGM_RSRC2:TRAP_HANDLER: 0
; COMPUTE_PGM_RSRC2:TGID_X_EN: 1
; COMPUTE_PGM_RSRC2:TGID_Y_EN: 1
; COMPUTE_PGM_RSRC2:TGID_Z_EN: 1
; COMPUTE_PGM_RSRC2:TIDIG_COMP_CNT: 0
	.section	.text._ZN4vllm4gptq33gemm_half_q_half_gptq_3bit_kernelILb1ELi7EEEvPK6__halfPKjS6_S4_PS2_iiiibPKi,"axG",@progbits,_ZN4vllm4gptq33gemm_half_q_half_gptq_3bit_kernelILb1ELi7EEEvPK6__halfPKjS6_S4_PS2_iiiibPKi,comdat
	.protected	_ZN4vllm4gptq33gemm_half_q_half_gptq_3bit_kernelILb1ELi7EEEvPK6__halfPKjS6_S4_PS2_iiiibPKi ; -- Begin function _ZN4vllm4gptq33gemm_half_q_half_gptq_3bit_kernelILb1ELi7EEEvPK6__halfPKjS6_S4_PS2_iiiibPKi
	.globl	_ZN4vllm4gptq33gemm_half_q_half_gptq_3bit_kernelILb1ELi7EEEvPK6__halfPKjS6_S4_PS2_iiiibPKi
	.p2align	8
	.type	_ZN4vllm4gptq33gemm_half_q_half_gptq_3bit_kernelILb1ELi7EEEvPK6__halfPKjS6_S4_PS2_iiiibPKi,@function
_ZN4vllm4gptq33gemm_half_q_half_gptq_3bit_kernelILb1ELi7EEEvPK6__halfPKjS6_S4_PS2_iiiibPKi: ; @_ZN4vllm4gptq33gemm_half_q_half_gptq_3bit_kernelILb1ELi7EEEvPK6__halfPKjS6_S4_PS2_iiiibPKi
; %bb.0:
	s_load_dwordx4 s[16:19], s[4:5], 0x2c
	s_lshl_b32 s20, s8, 7
	s_load_dwordx8 s[8:15], s[4:5], 0x8
	s_add_i32 s0, s20, 0x80
	s_mul_i32 s7, s7, 7
	v_cvt_f64_u32_e32 v[1:2], s0
	s_mov_b32 s22, exec_lo
	s_waitcnt lgkmcnt(0)
	v_cvt_f64_i32_e32 v[3:4], s17
	v_min_f64 v[1:2], v[1:2], v[3:4]
	v_cvt_i32_f64_e32 v2, v[1:2]
	v_add_nc_u32_e32 v1, s20, v0
	v_readfirstlane_b32 s21, v2
	v_cmpx_lt_u32_e64 v1, v2
	s_cbranch_execz .LBB40_16
; %bb.1:
	s_clause 0x1
	s_load_dwordx2 s[2:3], s[4:5], 0x40
	s_load_dwordx2 s[0:1], s[4:5], 0x0
	v_mov_b32_e32 v2, 0
	v_lshlrev_b64 v[3:4], 2, v[1:2]
	v_mov_b32_e32 v6, v2
	v_mov_b32_e32 v5, v1
	s_waitcnt lgkmcnt(0)
	v_add_co_u32 v3, vcc_lo, s2, v3
	v_add_co_ci_u32_e64 v4, null, s3, v4, vcc_lo
	s_cmp_lg_u64 s[2:3], 0
	s_cselect_b32 s4, -1, 0
	s_cmp_eq_u64 s[2:3], 0
	s_cbranch_scc1 .LBB40_3
; %bb.2:
	global_load_dword v5, v[3:4], off
	s_waitcnt vmcnt(0)
	v_ashrrev_i32_e32 v6, 31, v5
.LBB40_3:
	s_mul_i32 s2, s7, s17
	v_lshlrev_b64 v[5:6], 1, v[5:6]
	s_ashr_i32 s3, s2, 31
	v_cndmask_b32_e64 v8, 0, 1, s4
	s_lshl_b64 s[24:25], s[2:3], 1
	v_lshlrev_b32_e32 v7, 1, v0
	s_add_u32 s3, s0, s24
	s_addc_u32 s5, s1, s25
	v_add_co_u32 v5, vcc_lo, s3, v5
	v_add_co_ci_u32_e64 v6, null, s5, v6, vcc_lo
	s_andn2_b32 vcc_lo, exec_lo, s4
	global_load_ushort v9, v[5:6], off
	v_mov_b32_e32 v6, v2
	v_mov_b32_e32 v5, v1
	s_waitcnt vmcnt(0)
	ds_write_b16 v7, v9
	s_cbranch_vccnz .LBB40_5
; %bb.4:
	global_load_dword v5, v[3:4], off
	s_waitcnt vmcnt(0)
	v_ashrrev_i32_e32 v6, 31, v5
.LBB40_5:
	s_add_i32 s2, s2, s17
	v_lshlrev_b64 v[5:6], 1, v[5:6]
	s_ashr_i32 s3, s2, 31
	s_lshl_b64 s[4:5], s[2:3], 1
	s_add_u32 s3, s0, s4
	s_addc_u32 s4, s1, s5
	v_add_co_u32 v5, vcc_lo, s3, v5
	v_add_co_ci_u32_e64 v6, null, s4, v6, vcc_lo
	v_cmp_ne_u32_e32 vcc_lo, 1, v8
	global_load_ushort v9, v[5:6], off
	v_mov_b32_e32 v6, v2
	v_mov_b32_e32 v5, v1
	s_waitcnt vmcnt(0)
	ds_write_b16 v7, v9 offset:256
	s_cbranch_vccnz .LBB40_7
; %bb.6:
	global_load_dword v5, v[3:4], off
	s_waitcnt vmcnt(0)
	v_ashrrev_i32_e32 v6, 31, v5
.LBB40_7:
	s_add_i32 s2, s2, s17
	v_lshlrev_b64 v[5:6], 1, v[5:6]
	s_ashr_i32 s3, s2, 31
	s_lshl_b64 s[4:5], s[2:3], 1
	s_add_u32 s3, s0, s4
	s_addc_u32 s4, s1, s5
	v_add_co_u32 v5, vcc_lo, s3, v5
	v_add_co_ci_u32_e64 v6, null, s4, v6, vcc_lo
	v_cmp_ne_u32_e32 vcc_lo, 1, v8
	global_load_ushort v9, v[5:6], off
	v_mov_b32_e32 v6, v2
	v_mov_b32_e32 v5, v1
	s_waitcnt vmcnt(0)
	ds_write_b16 v7, v9 offset:512
	;; [unrolled: 20-line block ×4, first 2 shown]
	s_cbranch_vccnz .LBB40_13
; %bb.12:
	global_load_dword v5, v[3:4], off
	s_waitcnt vmcnt(0)
	v_ashrrev_i32_e32 v6, 31, v5
.LBB40_13:
	s_add_i32 s2, s2, s17
	v_lshlrev_b64 v[5:6], 1, v[5:6]
	s_ashr_i32 s3, s2, 31
	s_lshl_b64 s[4:5], s[2:3], 1
	s_add_u32 s3, s0, s4
	s_addc_u32 s4, s1, s5
	v_add_co_u32 v5, vcc_lo, s3, v5
	v_add_co_ci_u32_e64 v6, null, s4, v6, vcc_lo
	v_cmp_ne_u32_e32 vcc_lo, 1, v8
	global_load_ushort v5, v[5:6], off
	s_waitcnt vmcnt(0)
	ds_write_b16 v7, v5 offset:1280
	s_cbranch_vccnz .LBB40_15
; %bb.14:
	global_load_dword v1, v[3:4], off
	s_waitcnt vmcnt(0)
	v_ashrrev_i32_e32 v2, 31, v1
.LBB40_15:
	s_add_i32 s2, s2, s17
	v_lshlrev_b64 v[1:2], 1, v[1:2]
	s_ashr_i32 s3, s2, 31
	s_lshl_b64 s[2:3], s[2:3], 1
	s_add_u32 s0, s0, s2
	s_addc_u32 s1, s1, s3
	v_add_co_u32 v1, vcc_lo, s0, v1
	v_add_co_ci_u32_e64 v2, null, s1, v2, vcc_lo
	global_load_ushort v1, v[1:2], off
	s_waitcnt vmcnt(0)
	ds_write_b16 v7, v1 offset:1536
.LBB40_16:
	s_or_b32 exec_lo, exec_lo, s22
	v_lshlrev_b32_e32 v0, 2, v0
	s_mov_b32 s0, exec_lo
	v_lshl_add_u32 v4, s6, 9, v0
	v_cmpx_gt_i32_e64 s16, v4
	s_cbranch_execz .LBB40_82
; %bb.17:
	s_abs_i32 s0, s18
	s_abs_i32 s3, s17
	v_cvt_f32_u32_e32 v1, s0
	s_sub_i32 s2, 0, s0
	v_and_b32_e32 v2, 28, v0
	s_waitcnt lgkmcnt(0)
	s_barrier
	v_rcp_iflag_f32_e32 v1, v1
	buffer_gl0_inv
	v_cmp_lt_u32_e32 vcc_lo, 4, v2
                                        ; implicit-def: $vgpr3
                                        ; implicit-def: $vgpr0
	v_mul_f32_e32 v1, 0x4f7ffffe, v1
	v_cvt_u32_f32_e32 v1, v1
	v_readfirstlane_b32 s1, v1
	s_mul_i32 s2, s2, s1
	s_mul_hi_u32 s2, s1, s2
	s_add_i32 s1, s1, s2
	s_xor_b32 s2, s17, s18
	s_mul_hi_u32 s1, s3, s1
	s_ashr_i32 s2, s2, 31
	s_mul_i32 s4, s1, s0
	s_sub_i32 s3, s3, s4
	s_add_i32 s4, s1, 1
	s_sub_i32 s5, s3, s0
	s_cmp_ge_u32 s3, s0
	s_cselect_b32 s1, s4, s1
	s_cselect_b32 s3, s5, s3
	s_add_i32 s4, s1, 1
	s_cmp_ge_u32 s3, s0
	s_cselect_b32 s0, s4, s1
	s_xor_b32 s0, s0, s2
	s_sub_i32 s6, s0, s2
	v_cvt_f32_u32_e32 v1, s6
	s_sub_i32 s1, 0, s6
	v_rcp_iflag_f32_e32 v1, v1
	v_mul_f32_e32 v1, 0x4f7ffffe, v1
	v_cvt_u32_f32_e32 v1, v1
	v_readfirstlane_b32 s0, v1
	s_mul_i32 s1, s1, s0
	s_mul_hi_u32 s1, s0, s1
	s_add_i32 s0, s0, s1
	s_mul_hi_u32 s0, s20, s0
	s_mul_i32 s1, s0, s6
	s_add_i32 s2, s0, 1
	s_sub_i32 s1, s20, s1
	s_sub_i32 s3, s1, s6
	s_cmp_ge_u32 s1, s6
	s_cselect_b32 s0, s2, s0
	s_cselect_b32 s1, s3, s1
	s_add_i32 s2, s0, 1
	s_cmp_ge_u32 s1, s6
	s_cselect_b32 s18, s2, s0
	s_and_saveexec_b32 s0, vcc_lo
	s_xor_b32 s1, exec_lo, s0
	s_cbranch_execz .LBB40_31
; %bb.18:
	s_mov_b32 s2, exec_lo
                                        ; implicit-def: $vgpr3
                                        ; implicit-def: $vgpr0
	v_cmpx_ne_u32_e32 8, v2
	s_xor_b32 s2, exec_lo, s2
	s_cbranch_execz .LBB40_28
; %bb.19:
	s_mov_b32 s3, exec_lo
                                        ; implicit-def: $vgpr3
                                        ; implicit-def: $vgpr0
	v_cmpx_lt_u32_e32 16, v2
	s_xor_b32 s3, exec_lo, s3
	s_cbranch_execz .LBB40_25
; %bb.20:
	v_lshl_add_u32 v0, v4, 1, v4
	s_mul_i32 s4, s18, s16
                                        ; implicit-def: $vgpr3
	s_ashr_i32 s0, s4, 31
	s_lshr_b32 s0, s0, 27
	v_ashrrev_i32_e32 v1, 31, v0
	s_add_i32 s0, s4, s0
	s_ashr_i32 s0, s0, 5
	v_lshrrev_b32_e32 v1, 27, v1
	v_add_nc_u32_e32 v0, v0, v1
	v_ashrrev_i32_e32 v0, 5, v0
	v_mad_u64_u32 v[0:1], null, s0, 3, v[0:1]
	v_ashrrev_i32_e32 v1, 31, v0
	v_lshlrev_b64 v[0:1], 2, v[0:1]
	v_add_co_u32 v0, s0, s10, v0
	v_add_co_ci_u32_e64 v1, null, s11, v1, s0
	v_cmp_ne_u32_e64 s0, 20, v2
	global_load_dword v5, v[0:1], off
	s_and_saveexec_b32 s5, s0
	s_xor_b32 s0, exec_lo, s5
	s_cbranch_execz .LBB40_22
; %bb.21:
	v_mad_u32_u24 v0, v2, 3, 0xffffffc0
	s_waitcnt vmcnt(0)
	v_lshrrev_b32_e32 v3, v0, v5
                                        ; implicit-def: $vgpr0_vgpr1
                                        ; implicit-def: $vgpr5
.LBB40_22:
	s_andn2_saveexec_b32 s0, s0
	s_cbranch_execz .LBB40_24
; %bb.23:
	global_load_dword v0, v[0:1], off offset:4
	s_waitcnt vmcnt(0)
	v_alignbit_b32 v0, v0, v5, 28
	v_and_b32_e32 v3, 0xfff, v0
.LBB40_24:
	s_or_b32 exec_lo, exec_lo, s0
	v_mov_b32_e32 v0, s4
.LBB40_25:
	s_andn2_saveexec_b32 s3, s3
	s_cbranch_execz .LBB40_27
; %bb.26:
	v_lshl_add_u32 v0, v4, 1, v4
	s_mul_i32 s4, s18, s16
	s_ashr_i32 s0, s4, 31
	s_lshr_b32 s0, s0, 27
	v_ashrrev_i32_e32 v1, 31, v0
	s_add_i32 s0, s4, s0
	s_ashr_i32 s0, s0, 5
	v_lshrrev_b32_e32 v1, 27, v1
	v_add_nc_u32_e32 v0, v0, v1
	v_ashrrev_i32_e32 v0, 5, v0
	v_mad_u64_u32 v[0:1], null, s0, 3, v[0:1]
	v_ashrrev_i32_e32 v1, 31, v0
	v_lshlrev_b64 v[0:1], 2, v[0:1]
	v_add_co_u32 v0, s0, s10, v0
	v_add_co_ci_u32_e64 v1, null, s11, v1, s0
	global_load_dword v0, v[0:1], off
	v_mad_u32_u24 v1, v2, 3, 0xffffffe0
	s_waitcnt vmcnt(0)
	v_lshrrev_b32_e32 v3, v1, v0
	v_mov_b32_e32 v0, s4
.LBB40_27:
	s_or_b32 exec_lo, exec_lo, s3
.LBB40_28:
	s_andn2_saveexec_b32 s2, s2
	s_cbranch_execz .LBB40_30
; %bb.29:
	v_lshl_add_u32 v0, v4, 1, v4
	s_mul_i32 s3, s18, s16
	s_ashr_i32 s0, s3, 31
	s_lshr_b32 s0, s0, 27
	v_ashrrev_i32_e32 v1, 31, v0
	s_add_i32 s0, s3, s0
	s_ashr_i32 s0, s0, 5
	v_lshrrev_b32_e32 v1, 27, v1
	v_add_nc_u32_e32 v0, v0, v1
	v_ashrrev_i32_e32 v0, 5, v0
	v_mad_u64_u32 v[0:1], null, s0, 3, v[0:1]
	v_ashrrev_i32_e32 v1, 31, v0
	v_lshlrev_b64 v[0:1], 2, v[0:1]
	v_add_co_u32 v0, s0, s10, v0
	v_add_co_ci_u32_e64 v1, null, s11, v1, s0
	global_load_dwordx2 v[0:1], v[0:1], off
	s_waitcnt vmcnt(0)
	v_perm_b32 v0, v0, v1, 0x2010007
	v_and_b32_e32 v3, 0xfff, v0
	v_mov_b32_e32 v0, s3
.LBB40_30:
	s_or_b32 exec_lo, exec_lo, s2
.LBB40_31:
	s_or_saveexec_b32 s1, s1
	v_lshl_add_u32 v1, v4, 1, v4
	v_mul_u32_u24_e32 v20, 3, v2
	v_ashrrev_i32_e32 v6, 31, v1
	s_xor_b32 exec_lo, exec_lo, s1
	s_cbranch_execz .LBB40_33
; %bb.32:
	v_lshrrev_b32_e32 v0, 27, v6
	s_mul_i32 s2, s18, s16
	s_ashr_i32 s0, s2, 31
	s_lshr_b32 s0, s0, 27
	v_add_nc_u32_e32 v0, v1, v0
	s_add_i32 s0, s2, s0
	s_ashr_i32 s0, s0, 5
	v_ashrrev_i32_e32 v0, 5, v0
	v_mad_u64_u32 v[7:8], null, s0, 3, v[0:1]
	v_ashrrev_i32_e32 v8, 31, v7
	v_lshlrev_b64 v[7:8], 2, v[7:8]
	v_add_co_u32 v7, s0, s10, v7
	v_add_co_ci_u32_e64 v8, null, s11, v8, s0
	global_load_dword v0, v[7:8], off
	s_waitcnt vmcnt(0)
	v_lshrrev_b32_e32 v3, v20, v0
	v_mov_b32_e32 v0, s2
.LBB40_33:
	s_or_b32 exec_lo, exec_lo, s1
	v_mov_b32_e32 v24, 0
	v_mov_b32_e32 v23, 0
	;; [unrolled: 1-line block ×13, first 2 shown]
	s_waitcnt vmcnt(0)
	v_mov_b32_e32 v5, 0
	s_cmp_ge_i32 s20, s21
	s_mov_b32 s22, 0
	s_cbranch_scc1 .LBB40_54
; %bb.34:
	v_add_nc_u32_e32 v7, v0, v4
	v_lshrrev_b32_e32 v0, 27, v6
	v_ashrrev_i32_e32 v5, 31, v4
	s_add_i32 s23, s6, s20
	v_bfe_u32 v29, v3, 9, 3
	v_ashrrev_i32_e32 v8, 31, v7
	v_add_nc_u32_e32 v0, v1, v0
	v_bfe_u32 v30, v3, 6, 3
	v_bfe_u32 v31, v3, 3, 3
	v_and_b32_e32 v32, 7, v3
	v_lshlrev_b64 v[7:8], 1, v[7:8]
	v_ashrrev_i32_e32 v6, 5, v0
	v_lshlrev_b64 v[0:1], 2, v[4:5]
	v_cmp_lt_u32_e64 s1, 16, v2
	v_cmp_ne_u32_e64 s2, 20, v2
	v_mad_u32_u24 v26, v2, 3, 0xffffffc0
	v_add_co_u32 v7, s0, s12, v7
	v_add_co_ci_u32_e64 v8, null, s13, v8, s0
	s_lshr_b32 s0, s20, 5
	v_mad_u32_u24 v27, v2, 3, 0xffffffe0
	s_mul_i32 s0, s0, s16
	global_load_dwordx2 v[9:10], v[7:8], off
	s_mul_i32 s4, s0, 3
	v_mov_b32_e32 v5, 0
	s_ashr_i32 s5, s4, 31
	s_bitcmp1_b32 s19, 0
	v_mov_b32_e32 v28, 0x10001
	s_cselect_b32 s0, -1, 0
	s_lshl_b64 s[4:5], s[4:5], 2
	s_xor_b32 s0, s0, -1
	s_ashr_i32 s17, s16, 31
	s_add_u32 s3, s8, s4
	s_addc_u32 s4, s9, s5
	v_add_co_u32 v7, s3, s3, v0
	v_cndmask_b32_e64 v25, 0, 1, s0
	v_cmp_ne_u32_e64 s0, 8, v2
	v_add_co_ci_u32_e64 v8, null, s4, v1, s3
	v_mov_b32_e32 v11, 0
	v_mov_b32_e32 v12, 0
	v_mov_b32_e32 v13, 0
	v_mov_b32_e32 v14, 0
	v_mov_b32_e32 v15, 0
	v_mov_b32_e32 v16, 0
	v_mov_b32_e32 v17, 0
	v_mov_b32_e32 v18, 0
	v_mov_b32_e32 v19, 0
	v_mov_b32_e32 v21, 0
	v_mov_b32_e32 v22, 0
	v_mov_b32_e32 v23, 0
	v_mov_b32_e32 v24, 0
	s_mul_hi_i32 s8, s16, 12
	s_mul_i32 s9, s16, 12
	s_lshl_b64 s[4:5], s[16:17], 2
	s_mov_b32 s17, 0x10001
	s_mov_b32 s19, 0x70007
	;; [unrolled: 1-line block ×4, first 2 shown]
	s_branch .LBB40_37
.LBB40_35:                              ;   in Loop: Header=BB40_37 Depth=1
	s_or_b32 exec_lo, exec_lo, s3
	v_add_nc_u32_e32 v0, s26, v4
	v_and_b32_e32 v32, 7, v2
	v_bfe_u32 v31, v2, 3, 3
	v_bfe_u32 v30, v2, 6, 3
	;; [unrolled: 1-line block ×3, first 2 shown]
	v_ashrrev_i32_e32 v1, 31, v0
	s_add_i32 s23, s23, s6
	v_lshlrev_b64 v[0:1], 1, v[0:1]
	v_add_co_u32 v0, s3, s12, v0
	v_add_co_ci_u32_e64 v1, null, s13, v1, s3
	global_load_dwordx2 v[9:10], v[0:1], off
.LBB40_36:                              ;   in Loop: Header=BB40_37 Depth=1
	v_add_co_u32 v43, s3, v7, s4
	v_add_co_ci_u32_e64 v44, null, s5, v8, s3
	global_load_dwordx4 v[0:3], v[7:8], off
	s_add_i32 s20, s20, 32
	global_load_dwordx4 v[39:42], v[43:44], off
	s_waitcnt vmcnt(1)
	v_and_or_b32 v83, v1, s19, 0x64006400
	v_and_or_b32 v84, v1, s24, 0x64006400
	v_lshrrev_b32_e32 v75, 6, v1
	v_lshrrev_b32_e32 v34, 15, v1
	s_waitcnt vmcnt(0)
	v_and_or_b32 v79, v40, s19, 0x64006400
	v_and_or_b32 v1, v40, s24, 0x64006400
	v_lshrrev_b32_e32 v63, 6, v40
	v_lshrrev_b32_e32 v38, 14, v40
	v_add_co_u32 v40, s3, v43, s4
	v_and_or_b32 v80, v41, s19, 0x64006400
	v_and_or_b32 v69, v41, s24, 0x64006400
	v_lshrrev_b32_e32 v64, 6, v41
	v_lshrrev_b32_e32 v37, 14, v41
	v_add_co_ci_u32_e64 v41, null, s5, v44, s3
	v_and_or_b32 v81, v42, s19, 0x64006400
	v_and_or_b32 v70, v42, s24, 0x64006400
	v_lshrrev_b32_e32 v65, 6, v42
	global_load_dwordx4 v[45:48], v[40:41], off
	v_lshrrev_b32_e32 v36, 14, v42
	v_and_or_b32 v35, v0, s19, 0x64006400
	v_and_or_b32 v85, v2, s19, 0x64006400
	;; [unrolled: 1-line block ×6, first 2 shown]
	s_add_i32 s3, s22, 0x400
	v_lshrrev_b32_e32 v68, 6, v0
	v_lshrrev_b32_e32 v76, 6, v2
	;; [unrolled: 1-line block ×3, first 2 shown]
	v_and_or_b32 v78, v39, s19, 0x64006400
	v_lshrrev_b32_e32 v33, 15, v0
	v_and_or_b32 v0, v39, s24, 0x64006400
	v_lshrrev_b32_e32 v62, 6, v39
	v_lshrrev_b32_e32 v2, 15, v2
	v_and_b32_e32 v38, 0x20002, v38
	v_and_b32_e32 v37, 0x20002, v37
	v_lshrrev_b32_e32 v39, 14, v39
	v_lshrrev_b32_e32 v3, 15, v3
	v_and_b32_e32 v36, 0x20002, v36
	v_and_or_b32 v34, 0x10001, v34, v38
	v_and_or_b32 v2, 0x10001, v2, v37
	v_and_b32_e32 v39, 0x20002, v39
	v_and_or_b32 v3, 0x10001, v3, v36
	v_and_or_b32 v33, 0x10001, v33, v39
	s_waitcnt vmcnt(0)
	v_and_or_b32 v58, v46, s19, 0x64006400
	v_and_or_b32 v59, v46, s24, 0x64006400
	v_lshrrev_b32_e32 v41, 6, v46
	v_lshrrev_b32_e32 v44, 13, v46
	v_and_or_b32 v60, v47, s19, 0x64006400
	v_and_or_b32 v61, v47, s24, 0x64006400
	v_lshrrev_b32_e32 v40, 6, v47
	v_lshrrev_b32_e32 v42, 13, v47
	;; [unrolled: 4-line block ×3, first 2 shown]
	v_add_nc_u32_e32 v48, v32, v25
	v_and_or_b32 v56, v45, s19, 0x64006400
	v_and_or_b32 v57, v45, s24, 0x64006400
	v_lshrrev_b32_e32 v43, 6, v45
	v_and_b32_e32 v38, 0x40004, v44
	v_cvt_f32_u32_e32 v52, v48
	v_mad_u32_u24 v51, v48, s17, 0xe400e400
	v_add_nc_u32_e32 v48, v31, v25
	v_and_b32_e32 v37, 0x40004, v42
	v_or3_b32 v34, v34, v38, 0x64006400
	v_cvt_f16_f32_e32 v71, v52
	v_pk_add_f16 v95, v51, v35
	v_cvt_f32_u32_e32 v53, v48
	v_mad_u32_u24 v50, v48, s17, 0xe400e400
	v_add_nc_u32_e32 v48, v30, v25
	v_mov_b32_e32 v35, s22
	v_pk_add_f16 v78, v51, v78
	v_cvt_f16_f32_e32 v72, v53
	v_pk_add_f16 v111, v50, v83
	v_cvt_f32_u32_e32 v54, v48
	v_mad_u32_u24 v49, v48, s17, 0xe400e400
	v_add_nc_u32_e32 v48, v29, v25
	v_sub_f16_e32 v53, 0xd800, v72
	ds_read2_b32 v[118:119], v35 offset0:2 offset1:3
	v_cvt_f16_f32_e32 v73, v54
	v_pk_add_f16 v113, v49, v85
	v_cvt_f32_u32_e32 v52, v48
	v_mul_u32_u24_sdwa v53, v53, v28 dst_sel:DWORD dst_unused:UNUSED_PAD src0_sel:WORD_0 src1_sel:DWORD
	v_mad_u32_u24 v48, v48, s17, 0xe400e400
	v_sub_f16_e32 v54, 0xd800, v73
	v_sub_f16_e32 v72, 0xcc00, v72
	v_cvt_f16_f32_e32 v74, v52
	v_pk_fma_f16 v112, 0x3000, v84, v53 op_sel_hi:[0,1,1]
	ds_read2_b32 v[83:84], v35 offset1:1
	v_sub_f16_e32 v52, 0xd800, v71
	v_mul_u32_u24_sdwa v54, v54, v28 dst_sel:DWORD dst_unused:UNUSED_PAD src0_sel:WORD_0 src1_sel:DWORD
	v_sub_f16_e32 v55, 0xd800, v74
	v_pk_add_f16 v115, v48, v87
	v_sub_f16_e32 v71, 0xcc00, v71
	v_mul_u32_u24_sdwa v52, v52, v28 dst_sel:DWORD dst_unused:UNUSED_PAD src0_sel:WORD_0 src1_sel:DWORD
	v_pk_fma_f16 v114, 0x3000, v86, v54 op_sel_hi:[0,1,1]
	v_mul_u32_u24_sdwa v55, v55, v28 dst_sel:DWORD dst_unused:UNUSED_PAD src0_sel:WORD_0 src1_sel:DWORD
	v_pk_add_f16 v79, v50, v79
	v_pk_add_f16 v80, v49, v80
	v_pk_fma_f16 v102, 0x3000, v82, v52 op_sel_hi:[0,1,1]
	v_pk_add_f16 v81, v48, v81
	v_pk_fma_f16 v116, 0x3000, v88, v55 op_sel_hi:[0,1,1]
	v_and_or_b32 v38, v41, s25, 0x64006400
	v_or3_b32 v2, v2, v37, 0x64006400
	v_and_or_b32 v37, v40, s25, 0x64006400
	v_lshrrev_b32_e32 v45, 13, v45
	v_and_b32_e32 v36, 0x40004, v47
	v_pk_add_f16 v34, v50, v34
	s_waitcnt lgkmcnt(0)
	v_pk_fma_f16 v85, v111, v83, 0
	v_pk_fma_f16 v82, v95, v83, 0
	v_and_b32_e32 v39, 0x40004, v45
	v_or3_b32 v3, v3, v36, 0x64006400
	v_and_or_b32 v36, v46, s25, 0x64006400
	v_pk_fma_f16 v89, v112, v84, v85
	v_pk_fma_f16 v85, v113, v83, 0
	;; [unrolled: 1-line block ×4, first 2 shown]
	v_or3_b32 v33, v33, v39, 0x64006400
	v_and_or_b32 v39, v43, s25, 0x64006400
	v_pk_fma_f16 v96, v114, v84, v85
	v_pk_fma_f16 v103, v116, v84, v83
	ds_read2_b32 v[84:85], v35 offset0:64 offset1:65
	v_pk_add_f16 v33, v51, v33
	v_pk_add_f16 v2, v49, v2
	;; [unrolled: 1-line block ×3, first 2 shown]
	s_waitcnt lgkmcnt(0)
	v_pk_fma_f16 v86, v111, v84, 0
	v_pk_fma_f16 v83, v95, v84, 0
	;; [unrolled: 1-line block ×8, first 2 shown]
	ds_read2_b32 v[85:86], v35 offset0:128 offset1:129
	s_waitcnt lgkmcnt(0)
	v_pk_fma_f16 v87, v111, v85, 0
	v_pk_fma_f16 v84, v95, v85, 0
	;; [unrolled: 1-line block ×8, first 2 shown]
	ds_read2_b32 v[86:87], v35 offset0:192 offset1:193
	s_waitcnt lgkmcnt(0)
	v_pk_fma_f16 v88, v111, v86, 0
	v_pk_fma_f16 v85, v95, v86, 0
	v_pk_fma_f16 v92, v112, v87, v88
	v_pk_fma_f16 v88, v113, v86, 0
	v_pk_fma_f16 v86, v115, v86, 0
	v_pk_fma_f16 v85, v102, v87, v85
	v_pk_fma_f16 v99, v114, v87, v88
	v_pk_fma_f16 v106, v116, v87, v86
	v_mov_b32_e32 v86, s3
	s_add_i32 s3, s22, 0x500
	ds_read2_b32 v[87:88], v86 offset1:1
	s_waitcnt lgkmcnt(0)
	v_pk_fma_f16 v86, v95, v87, 0
	v_pk_fma_f16 v93, v111, v87, 0
	v_pk_fma_f16 v94, v113, v87, 0
	v_pk_fma_f16 v87, v115, v87, 0
	v_pk_fma_f16 v86, v102, v88, v86
	v_pk_fma_f16 v93, v112, v88, v93
	v_pk_fma_f16 v100, v114, v88, v94
	v_pk_fma_f16 v107, v116, v88, v87
	v_mov_b32_e32 v87, s3
	s_add_i32 s3, s22, 0x600
	ds_read2_b32 v[108:109], v87 offset1:1
	s_waitcnt lgkmcnt(0)
	v_pk_fma_f16 v88, v111, v108, 0
	v_pk_fma_f16 v87, v95, v108, 0
	v_pk_fma_f16 v94, v112, v109, v88
	v_pk_fma_f16 v88, v113, v108, 0
	v_pk_fma_f16 v87, v102, v109, v87
	v_pk_fma_f16 v101, v114, v109, v88
	v_pk_fma_f16 v88, v115, v108, 0
	v_pk_fma_f16 v108, v116, v109, v88
	v_mov_b32_e32 v88, s3
	s_add_i32 s3, s22, 0x408
	ds_read2_b32 v[109:110], v88 offset1:1
	s_waitcnt lgkmcnt(0)
	v_pk_fma_f16 v88, v95, v109, 0
	v_pk_fma_f16 v95, v111, v109, 0
	;; [unrolled: 1-line block ×6, first 2 shown]
	v_and_or_b32 v112, v75, s19, 0x64006400
	v_pk_fma_f16 v102, v114, v110, v102
	v_pk_fma_f16 v109, v116, v110, v109
	v_and_or_b32 v110, v68, s19, 0x64006400
	v_and_or_b32 v114, v76, s19, 0x64006400
	;; [unrolled: 1-line block ×3, first 2 shown]
	v_pk_add_f16 v113, v50, v112
	v_and_or_b32 v112, v75, s24, 0x64006400
	v_pk_add_f16 v111, v51, v110
	v_and_or_b32 v110, v68, s24, 0x64006400
	;; [unrolled: 2-line block ×4, first 2 shown]
	v_pk_fma_f16 v110, 0x3000, v110, v52 op_sel_hi:[0,1,1]
	v_pk_fma_f16 v112, 0x3000, v112, v53 op_sel_hi:[0,1,1]
	v_pk_fma_f16 v114, 0x3000, v114, v54 op_sel_hi:[0,1,1]
	v_pk_fma_f16 v82, v111, v118, v82
	v_pk_fma_f16 v116, 0x3000, v116, v55 op_sel_hi:[0,1,1]
	v_pk_fma_f16 v89, v113, v118, v89
	v_pk_fma_f16 v96, v115, v118, v96
	;; [unrolled: 1-line block ×4, first 2 shown]
	v_and_or_b32 v75, v75, s25, 0x64006400
	v_pk_fma_f16 v89, v112, v119, v89
	v_pk_fma_f16 v96, v114, v119, v96
	;; [unrolled: 1-line block ×3, first 2 shown]
	ds_read2_b32 v[118:119], v35 offset0:66 offset1:67
	v_and_or_b32 v76, v76, s25, 0x64006400
	v_and_or_b32 v68, v68, s25, 0x64006400
	;; [unrolled: 1-line block ×3, first 2 shown]
	s_waitcnt lgkmcnt(0)
	v_pk_fma_f16 v82, v111, v118, v83
	v_pk_fma_f16 v83, v113, v118, v90
	;; [unrolled: 1-line block ×6, first 2 shown]
	ds_read2_b32 v[82:83], v35 offset0:130 offset1:131
	v_pk_fma_f16 v90, v114, v119, v90
	v_pk_fma_f16 v97, v116, v119, v97
	s_waitcnt lgkmcnt(0)
	v_pk_fma_f16 v84, v111, v82, v84
	v_pk_fma_f16 v91, v113, v82, v91
	;; [unrolled: 1-line block ×8, first 2 shown]
	ds_read2_b32 v[82:83], v35 offset0:194 offset1:195
	s_waitcnt lgkmcnt(0)
	v_pk_fma_f16 v85, v111, v82, v85
	v_pk_fma_f16 v92, v113, v82, v92
	v_pk_fma_f16 v99, v115, v82, v99
	v_pk_fma_f16 v82, v117, v82, v106
	v_pk_fma_f16 v85, v110, v83, v85
	v_pk_fma_f16 v106, v112, v83, v92
	v_pk_fma_f16 v99, v114, v83, v99
	v_pk_fma_f16 v119, v116, v83, v82
	v_mov_b32_e32 v82, s3
	s_add_i32 s3, s22, 0x508
	ds_read2_b32 v[82:83], v82 offset1:1
	s_waitcnt lgkmcnt(0)
	v_pk_fma_f16 v86, v111, v82, v86
	v_pk_fma_f16 v92, v113, v82, v93
	v_pk_fma_f16 v93, v115, v82, v100
	v_pk_fma_f16 v82, v117, v82, v107
	v_pk_fma_f16 v86, v110, v83, v86
	v_pk_fma_f16 v100, v112, v83, v92
	v_pk_fma_f16 v107, v114, v83, v93
	v_pk_fma_f16 v121, v116, v83, v82
	v_mov_b32_e32 v82, s3
	s_add_i32 s3, s22, 0x608
	ds_read2_b32 v[82:83], v82 offset1:1
	;; [unrolled: 12-line block ×3, first 2 shown]
	s_waitcnt lgkmcnt(0)
	v_pk_fma_f16 v88, v111, v82, v88
	v_pk_fma_f16 v92, v113, v82, v95
	;; [unrolled: 1-line block ×8, first 2 shown]
	v_sub_f16_e32 v83, 0xcc00, v73
	v_mul_u32_u24_sdwa v73, v72, v28 dst_sel:DWORD dst_unused:UNUSED_PAD src0_sel:WORD_0 src1_sel:DWORD
	v_sub_f16_e32 v92, 0xcc00, v74
	v_mul_u32_u24_sdwa v74, v71, v28 dst_sel:DWORD dst_unused:UNUSED_PAD src0_sel:WORD_0 src1_sel:DWORD
	v_mul_u32_u24_sdwa v72, v83, v28 dst_sel:DWORD dst_unused:UNUSED_PAD src0_sel:WORD_0 src1_sel:DWORD
	v_pk_fma_f16 v83, 0x2400, v75, v73 op_sel_hi:[0,1,1]
	v_mul_u32_u24_sdwa v71, v92, v28 dst_sel:DWORD dst_unused:UNUSED_PAD src0_sel:WORD_0 src1_sel:DWORD
	v_pk_fma_f16 v68, 0x2400, v68, v74 op_sel_hi:[0,1,1]
	v_pk_fma_f16 v39, 0x2400, v39, v74 op_sel_hi:[0,1,1]
	;; [unrolled: 1-line block ×3, first 2 shown]
	ds_read2_b32 v[75:76], v35 offset0:4 offset1:5
	v_pk_fma_f16 v77, 0x2400, v77, v71 op_sel_hi:[0,1,1]
	v_pk_fma_f16 v38, 0x2400, v38, v73 op_sel_hi:[0,1,1]
	;; [unrolled: 1-line block ×4, first 2 shown]
	s_waitcnt lgkmcnt(0)
	v_pk_fma_f16 v92, v68, v75, v120
	v_pk_fma_f16 v89, v83, v75, v89
	v_pk_fma_f16 v93, v111, v75, v96
	v_pk_fma_f16 v75, v77, v75, v103
	v_pk_fma_f16 v112, v78, v76, v92
	v_pk_fma_f16 v89, v79, v76, v89
	v_pk_fma_f16 v113, v80, v76, v93
	v_pk_fma_f16 v114, v81, v76, v75
	ds_read2_b32 v[75:76], v35 offset0:68 offset1:69
	s_waitcnt lgkmcnt(0)
	v_pk_fma_f16 v92, v68, v75, v104
	v_pk_fma_f16 v93, v83, v75, v118
	v_pk_fma_f16 v90, v111, v75, v90
	v_pk_fma_f16 v75, v77, v75, v97
	v_pk_fma_f16 v115, v78, v76, v92
	v_pk_fma_f16 v116, v79, v76, v93
	v_pk_fma_f16 v90, v80, v76, v90
	v_pk_fma_f16 v117, v81, v76, v75
	ds_read2_b32 v[75:76], v35 offset0:132 offset1:133
	;; [unrolled: 10-line block ×3, first 2 shown]
	s_waitcnt lgkmcnt(0)
	v_pk_fma_f16 v84, v68, v75, v85
	v_pk_fma_f16 v85, v83, v75, v106
	v_pk_fma_f16 v91, v111, v75, v99
	v_pk_fma_f16 v75, v77, v75, v119
	v_pk_fma_f16 v96, v78, v76, v84
	v_pk_fma_f16 v97, v79, v76, v85
	v_pk_fma_f16 v98, v80, v76, v91
	v_pk_fma_f16 v99, v81, v76, v75
	v_mov_b32_e32 v75, s3
	s_add_i32 s3, s22, 0x510
	ds_read2_b32 v[75:76], v75 offset1:1
	s_waitcnt lgkmcnt(0)
	v_pk_fma_f16 v84, v68, v75, v86
	v_pk_fma_f16 v85, v83, v75, v100
	v_pk_fma_f16 v86, v111, v75, v107
	v_pk_fma_f16 v75, v77, v75, v121
	v_pk_fma_f16 v100, v78, v76, v84
	v_pk_fma_f16 v101, v79, v76, v85
	v_pk_fma_f16 v102, v80, v76, v86
	v_pk_fma_f16 v103, v81, v76, v75
	v_mov_b32_e32 v75, s3
	s_add_i32 s3, s22, 0x610
	ds_read2_b32 v[75:76], v75 offset1:1
	;; [unrolled: 12-line block ×3, first 2 shown]
	s_waitcnt lgkmcnt(0)
	v_pk_fma_f16 v68, v68, v75, v88
	v_pk_fma_f16 v83, v83, v75, v109
	;; [unrolled: 1-line block ×4, first 2 shown]
	v_pk_fma_f16 v82, 0x3000, v1, v53 op_sel_hi:[0,1,1]
	v_pk_fma_f16 v78, v78, v76, v68
	v_pk_fma_f16 v79, v79, v76, v83
	v_pk_fma_f16 v83, 0x3000, v69, v54 op_sel_hi:[0,1,1]
	v_pk_fma_f16 v68, v81, v76, v75
	v_pk_fma_f16 v81, 0x3000, v0, v52 op_sel_hi:[0,1,1]
	v_and_or_b32 v0, v62, s19, 0x64006400
	v_pk_fma_f16 v69, 0x3000, v70, v55 op_sel_hi:[0,1,1]
	v_pk_fma_f16 v80, v80, v76, v84
	v_pk_add_f16 v70, v51, v0
	v_and_or_b32 v0, v63, s19, 0x64006400
	v_pk_add_f16 v76, v50, v0
	v_and_or_b32 v0, v64, s19, 0x64006400
	;; [unrolled: 2-line block ×3, first 2 shown]
	v_pk_add_f16 v75, v48, v0
	ds_read2_b32 v[0:1], v35 offset0:6 offset1:7
	s_waitcnt lgkmcnt(0)
	v_pk_fma_f16 v84, v81, v0, v112
	v_pk_fma_f16 v85, v82, v0, v89
	v_pk_fma_f16 v86, v83, v0, v113
	v_pk_fma_f16 v0, v69, v0, v114
	v_pk_fma_f16 v84, v70, v1, v84
	v_pk_fma_f16 v85, v76, v1, v85
	v_pk_fma_f16 v86, v77, v1, v86
	v_pk_fma_f16 v87, v75, v1, v0
	ds_read2_b32 v[0:1], v35 offset0:70 offset1:71
	s_waitcnt lgkmcnt(0)
	v_pk_fma_f16 v88, v81, v0, v115
	v_pk_fma_f16 v89, v82, v0, v116
	v_pk_fma_f16 v90, v83, v0, v90
	v_pk_fma_f16 v0, v69, v0, v117
	v_pk_fma_f16 v88, v70, v1, v88
	v_pk_fma_f16 v89, v76, v1, v89
	v_pk_fma_f16 v90, v77, v1, v90
	v_pk_fma_f16 v91, v75, v1, v0
	;; [unrolled: 10-line block ×4, first 2 shown]
	v_mov_b32_e32 v0, s3
	s_add_i32 s3, s22, 0x518
	ds_read2_b32 v[0:1], v0 offset1:1
	s_waitcnt lgkmcnt(0)
	v_pk_fma_f16 v100, v81, v0, v100
	v_pk_fma_f16 v101, v82, v0, v101
	;; [unrolled: 1-line block ×8, first 2 shown]
	v_mov_b32_e32 v0, s3
	s_add_i32 s3, s22, 0x618
	ds_read2_b32 v[0:1], v0 offset1:1
	s_waitcnt lgkmcnt(0)
	v_pk_fma_f16 v104, v81, v0, v104
	v_pk_fma_f16 v105, v82, v0, v105
	;; [unrolled: 1-line block ×8, first 2 shown]
	v_mov_b32_e32 v0, s3
	s_add_i32 s3, s22, 0x420
	ds_read2_b32 v[0:1], v0 offset1:1
	s_waitcnt lgkmcnt(0)
	v_pk_fma_f16 v78, v81, v0, v78
	v_pk_fma_f16 v79, v82, v0, v79
	;; [unrolled: 1-line block ×4, first 2 shown]
	ds_read2_b32 v[68:69], v35 offset0:72 offset1:73
	v_pk_fma_f16 v108, v70, v1, v78
	v_pk_fma_f16 v109, v76, v1, v79
	;; [unrolled: 1-line block ×4, first 2 shown]
	v_and_or_b32 v0, v62, s24, 0x64006400
	v_and_or_b32 v1, v62, s25, 0x64006400
	;; [unrolled: 1-line block ×3, first 2 shown]
	ds_read2_b32 v[76:77], v35 offset0:136 offset1:137
	ds_read2_b32 v[80:81], v35 offset0:200 offset1:201
	v_pk_fma_f16 v112, 0x3000, v0, v52 op_sel_hi:[0,1,1]
	v_pk_fma_f16 v113, 0x2400, v1, v74 op_sel_hi:[0,1,1]
	v_and_or_b32 v0, v63, s24, 0x64006400
	v_and_or_b32 v1, v63, s25, 0x64006400
	;; [unrolled: 1-line block ×3, first 2 shown]
	v_pk_fma_f16 v117, 0x2400, v62, v72 op_sel_hi:[0,1,1]
	v_pk_fma_f16 v114, 0x3000, v0, v53 op_sel_hi:[0,1,1]
	v_and_or_b32 v0, v64, s24, 0x64006400
	v_pk_fma_f16 v118, 0x3000, v63, v55 op_sel_hi:[0,1,1]
	ds_read2_b32 v[62:63], v35 offset0:8 offset1:9
	v_and_or_b32 v64, v65, s25, 0x64006400
	v_pk_fma_f16 v115, 0x2400, v1, v73 op_sel_hi:[0,1,1]
	v_pk_fma_f16 v116, 0x3000, v0, v54 op_sel_hi:[0,1,1]
	s_waitcnt lgkmcnt(3)
	v_pk_fma_f16 v75, v118, v68, v91
	v_pk_fma_f16 v119, 0x2400, v64, v71 op_sel_hi:[0,1,1]
	v_pk_fma_f16 v70, v116, v68, v90
	s_waitcnt lgkmcnt(2)
	v_pk_fma_f16 v78, v116, v76, v94
	v_pk_fma_f16 v79, v118, v76, v95
	s_waitcnt lgkmcnt(1)
	v_pk_fma_f16 v82, v116, v80, v98
	v_pk_fma_f16 v83, v118, v80, v99
	v_pk_add_f16 v99, v50, v58
	v_pk_fma_f16 v98, 0x3000, v67, v55 op_sel_hi:[0,1,1]
	s_waitcnt lgkmcnt(0)
	v_pk_fma_f16 v0, v112, v62, v84
	v_pk_fma_f16 v1, v114, v62, v85
	;; [unrolled: 1-line block ×19, first 2 shown]
	v_pk_fma_f16 v96, 0x3000, v61, v54 op_sel_hi:[0,1,1]
	v_pk_fma_f16 v75, v115, v77, v75
	v_pk_fma_f16 v77, v119, v77, v79
	;; [unrolled: 1-line block ×4, first 2 shown]
	v_mov_b32_e32 v82, s3
	s_add_i32 s3, s22, 0x520
	v_pk_fma_f16 v78, v113, v81, v78
	v_pk_fma_f16 v79, v115, v81, v79
	;; [unrolled: 1-line block ×3, first 2 shown]
	ds_read2_b32 v[84:85], v82 offset1:1
	v_pk_add_f16 v97, v51, v56
	s_waitcnt lgkmcnt(0)
	v_pk_fma_f16 v86, v116, v84, v102
	v_pk_fma_f16 v82, v112, v84, v100
	;; [unrolled: 1-line block ×4, first 2 shown]
	v_pk_add_f16 v100, v49, v60
	v_pk_fma_f16 v84, v117, v85, v86
	v_mov_b32_e32 v86, s3
	s_add_i32 s3, s22, 0x620
	v_pk_fma_f16 v82, v113, v85, v82
	v_pk_fma_f16 v83, v115, v85, v83
	;; [unrolled: 1-line block ×3, first 2 shown]
	ds_read2_b32 v[88:89], v86 offset1:1
	ds_read2_b32 v[60:61], v35 offset0:74 offset1:75
	v_pk_add_f16 v101, v48, v66
	s_waitcnt lgkmcnt(1)
	v_pk_fma_f16 v90, v116, v88, v106
	v_pk_fma_f16 v86, v112, v88, v104
	v_pk_fma_f16 v87, v114, v88, v105
	v_pk_fma_f16 v91, v118, v88, v107
	v_pk_fma_f16 v88, v117, v89, v90
	v_mov_b32_e32 v90, s3
	v_pk_fma_f16 v86, v113, v89, v86
	v_pk_fma_f16 v87, v115, v89, v87
	;; [unrolled: 1-line block ×3, first 2 shown]
	s_add_i32 s3, s22, 0x428
	ds_read2_b32 v[92:93], v90 offset1:1
	s_waitcnt lgkmcnt(0)
	v_pk_fma_f16 v94, v116, v92, v110
	v_pk_fma_f16 v90, v112, v92, v108
	;; [unrolled: 1-line block ×5, first 2 shown]
	v_pk_fma_f16 v94, 0x3000, v57, v52 op_sel_hi:[0,1,1]
	ds_read2_b32 v[56:57], v35 offset0:10 offset1:11
	v_pk_fma_f16 v90, v113, v93, v90
	v_pk_fma_f16 v91, v115, v93, v91
	v_pk_fma_f16 v93, v119, v93, v95
	v_pk_fma_f16 v95, 0x3000, v59, v53 op_sel_hi:[0,1,1]
	s_waitcnt lgkmcnt(0)
	v_pk_fma_f16 v0, v97, v56, v0
	v_pk_fma_f16 v1, v99, v56, v1
	;; [unrolled: 1-line block ×12, first 2 shown]
	ds_read2_b32 v[64:65], v35 offset0:138 offset1:139
	ds_read2_b32 v[68:69], v35 offset0:202 offset1:203
	v_pk_fma_f16 v58, v94, v61, v58
	v_pk_fma_f16 v59, v95, v61, v59
	;; [unrolled: 1-line block ×4, first 2 shown]
	s_waitcnt lgkmcnt(1)
	v_pk_fma_f16 v62, v97, v64, v70
	v_pk_fma_f16 v63, v99, v64, v75
	;; [unrolled: 1-line block ×4, first 2 shown]
	s_waitcnt lgkmcnt(0)
	v_pk_fma_f16 v70, v100, v68, v80
	v_pk_fma_f16 v62, v94, v65, v62
	;; [unrolled: 1-line block ×9, first 2 shown]
	v_mov_b32_e32 v70, s3
	s_add_i32 s3, s22, 0x528
	v_pk_fma_f16 v66, v94, v69, v66
	v_pk_fma_f16 v67, v95, v69, v67
	;; [unrolled: 1-line block ×3, first 2 shown]
	ds_read2_b32 v[76:77], v70 offset1:1
	s_waitcnt lgkmcnt(0)
	v_pk_fma_f16 v78, v100, v76, v84
	v_pk_fma_f16 v70, v97, v76, v82
	;; [unrolled: 1-line block ×5, first 2 shown]
	v_mov_b32_e32 v78, s3
	s_add_i32 s3, s22, 0x628
	v_pk_fma_f16 v70, v94, v77, v70
	v_pk_fma_f16 v75, v95, v77, v75
	;; [unrolled: 1-line block ×3, first 2 shown]
	ds_read2_b32 v[80:81], v78 offset1:1
	s_waitcnt lgkmcnt(0)
	v_pk_fma_f16 v82, v100, v80, v88
	v_pk_fma_f16 v78, v97, v80, v86
	;; [unrolled: 1-line block ×4, first 2 shown]
	v_and_or_b32 v88, v40, s19, 0x64006400
	v_pk_fma_f16 v80, v96, v81, v82
	v_mov_b32_e32 v82, s3
	v_pk_fma_f16 v78, v94, v81, v78
	v_pk_fma_f16 v79, v95, v81, v79
	;; [unrolled: 1-line block ×3, first 2 shown]
	v_and_or_b32 v89, v46, s19, 0x64006400
	ds_read2_b32 v[84:85], v82 offset1:1
	v_pk_add_f16 v88, v49, v88
	s_add_i32 s3, s22, 0x430
	v_pk_add_f16 v89, v48, v89
	s_waitcnt lgkmcnt(0)
	v_pk_fma_f16 v86, v100, v84, v92
	v_pk_fma_f16 v82, v97, v84, v90
	v_pk_fma_f16 v83, v99, v84, v91
	v_pk_fma_f16 v87, v101, v84, v93
	ds_read2_b32 v[90:91], v35 offset0:12 offset1:13
	v_pk_fma_f16 v84, v96, v85, v86
	v_and_or_b32 v86, v43, s24, 0x64006400
	v_pk_fma_f16 v82, v94, v85, v82
	v_pk_fma_f16 v83, v95, v85, v83
	;; [unrolled: 1-line block ×3, first 2 shown]
	v_and_or_b32 v87, v41, s19, 0x64006400
	v_pk_fma_f16 v52, 0x3000, v86, v52 op_sel_hi:[0,1,1]
	v_and_or_b32 v86, v41, s24, 0x64006400
	v_pk_add_f16 v87, v50, v87
	v_pk_fma_f16 v53, 0x3000, v86, v53 op_sel_hi:[0,1,1]
	v_and_or_b32 v86, v40, s24, 0x64006400
	ds_read2_b32 v[40:41], v35 offset0:14 offset1:15
	v_pk_fma_f16 v54, 0x3000, v86, v54 op_sel_hi:[0,1,1]
	v_and_or_b32 v86, v46, s24, 0x64006400
	s_waitcnt lgkmcnt(1)
	v_pk_fma_f16 v1, v87, v90, v1
	v_pk_fma_f16 v56, v88, v90, v56
	;; [unrolled: 1-line block ×3, first 2 shown]
	v_pk_fma_f16 v55, 0x3000, v86, v55 op_sel_hi:[0,1,1]
	v_and_or_b32 v86, v43, s19, 0x64006400
	v_pk_fma_f16 v92, v53, v91, v1
	v_pk_fma_f16 v93, v54, v91, v56
	v_pk_add_f16 v86, v51, v86
	s_waitcnt lgkmcnt(0)
	v_pk_fma_f16 v43, v38, v40, v92
	v_pk_fma_f16 v0, v86, v90, v0
	;; [unrolled: 1-line block ×5, first 2 shown]
	ds_read2_b32 v[0:1], v35 offset0:76 offset1:77
	v_pk_fma_f16 v91, v55, v91, v57
	v_pk_fma_f16 v42, v39, v40, v90
	v_pk_fma_f16 v46, v36, v40, v91
	v_pk_fma_f16 v40, v2, v41, v45
	v_pk_fma_f16 v42, v33, v41, v42
	v_pk_fma_f16 v41, v3, v41, v46
	ds_read2_b32 v[45:46], v35 offset0:78 offset1:79
	s_waitcnt lgkmcnt(1)
	v_pk_fma_f16 v56, v86, v0, v58
	v_pk_fma_f16 v57, v87, v0, v59
	v_pk_fma_f16 v58, v88, v0, v60
	v_pk_fma_f16 v0, v89, v0, v61
	v_pk_fma_f16 v94, v52, v1, v56
	v_pk_fma_f16 v95, v53, v1, v57
	v_pk_fma_f16 v96, v54, v1, v58
	v_pk_fma_f16 v97, v55, v1, v0
	ds_read2_b32 v[0:1], v35 offset0:140 offset1:141
	s_waitcnt lgkmcnt(1)
	v_pk_fma_f16 v43, v39, v45, v94
	v_pk_fma_f16 v47, v38, v45, v95
	;; [unrolled: 10-line block ×4, first 2 shown]
	s_waitcnt lgkmcnt(0)
	v_pk_fma_f16 v56, v86, v0, v66
	v_pk_fma_f16 v57, v87, v0, v67
	v_pk_fma_f16 v58, v88, v0, v68
	v_pk_fma_f16 v0, v89, v0, v69
	v_pk_fma_f16 v68, v52, v1, v56
	v_pk_fma_f16 v69, v53, v1, v57
	v_pk_fma_f16 v102, v54, v1, v58
	v_pk_fma_f16 v103, v55, v1, v0
	v_mov_b32_e32 v0, s3
	s_add_i32 s3, s22, 0x530
	ds_read2_b32 v[0:1], v0 offset1:1
	s_waitcnt lgkmcnt(0)
	v_pk_fma_f16 v56, v86, v0, v70
	v_pk_fma_f16 v57, v87, v0, v75
	v_pk_fma_f16 v58, v88, v0, v76
	v_pk_fma_f16 v0, v89, v0, v77
	v_pk_fma_f16 v56, v52, v1, v56
	v_pk_fma_f16 v61, v53, v1, v57
	v_pk_fma_f16 v62, v54, v1, v58
	v_pk_fma_f16 v65, v55, v1, v0
	v_mov_b32_e32 v0, s3
	s_add_i32 s3, s22, 0x630
	ds_read2_b32 v[0:1], v0 offset1:1
	;; [unrolled: 12-line block ×3, first 2 shown]
	s_waitcnt lgkmcnt(0)
	v_pk_fma_f16 v0, v86, v57, v82
	v_pk_fma_f16 v66, v88, v57, v84
	;; [unrolled: 1-line block ×6, first 2 shown]
	ds_read2_b32 v[66:67], v35 offset0:206 offset1:207
	v_pk_fma_f16 v1, v53, v58, v1
	v_pk_fma_f16 v53, v55, v58, v57
	;; [unrolled: 1-line block ×8, first 2 shown]
	s_waitcnt lgkmcnt(0)
	v_pk_fma_f16 v35, v39, v66, v68
	v_pk_fma_f16 v55, v37, v66, v102
	;; [unrolled: 1-line block ×6, first 2 shown]
	v_mov_b32_e32 v55, s3
	v_pk_fma_f16 v58, v34, v67, v50
	v_pk_fma_f16 v50, v3, v67, v66
	s_add_i32 s3, s22, 0x538
	ds_read2_b32 v[66:67], v55 offset1:1
	s_waitcnt lgkmcnt(0)
	v_pk_fma_f16 v55, v39, v66, v56
	v_pk_fma_f16 v56, v38, v66, v61
	;; [unrolled: 1-line block ×7, first 2 shown]
	v_mov_b32_e32 v65, s3
	v_pk_fma_f16 v55, v2, v67, v68
	s_add_i32 s3, s22, 0x638
	s_add_i32 s22, s22, 64
	s_cmp_ge_i32 s20, s21
	ds_read2_b32 v[65:66], v65 offset1:1
	s_waitcnt lgkmcnt(0)
	v_pk_fma_f16 v59, v39, v65, v59
	v_pk_fma_f16 v60, v38, v65, v60
	;; [unrolled: 1-line block ×8, first 2 shown]
	v_mov_b32_e32 v65, s3
	v_add_co_u32 v7, s3, v7, s9
	v_add_co_ci_u32_e64 v8, null, s8, v8, s3
	ds_read2_b32 v[65:66], v65 offset1:1
	s_waitcnt lgkmcnt(0)
	v_pk_fma_f16 v0, v39, v65, v0
	v_pk_fma_f16 v1, v38, v65, v1
	;; [unrolled: 1-line block ×4, first 2 shown]
	v_pack_b32_f16 v38, v51, v54
	v_pk_fma_f16 v0, v33, v66, v0
	v_pk_fma_f16 v1, v34, v66, v1
	v_pk_fma_f16 v2, v2, v66, v37
	v_pk_fma_f16 v3, v3, v66, v36
	v_pack_b32_f16 v33, v42, v44
	v_perm_b32 v34, v44, v42, 0x7060302
	v_pack_b32_f16 v36, v48, v49
	v_perm_b32 v37, v49, v48, 0x7060302
	v_perm_b32 v39, v54, v51, 0x7060302
	v_pack_b32_f16 v42, v57, v58
	v_perm_b32 v44, v58, v57, 0x7060302
	v_pk_add_f16 v33, v33, v34
	v_pk_add_f16 v34, v36, v37
	v_pk_add_f16 v36, v38, v39
	v_pack_b32_f16 v38, v0, v1
	v_pk_add_f16 v37, v42, v44
	v_pk_fma_f16 v24, v33, v9, v24
	v_pk_fma_f16 v22, v34, v9, v22
	;; [unrolled: 1-line block ×3, first 2 shown]
	v_pack_b32_f16 v33, v61, v62
	v_pk_fma_f16 v17, v37, v9, v17
	v_perm_b32 v34, v62, v61, 0x7060302
	v_pack_b32_f16 v36, v63, v64
	v_perm_b32 v37, v64, v63, 0x7060302
	v_perm_b32 v0, v1, v0, 0x7060302
	v_pack_b32_f16 v1, v40, v41
	v_perm_b32 v39, v41, v40, 0x7060302
	v_pack_b32_f16 v40, v43, v45
	v_perm_b32 v41, v45, v43, 0x7060302
	v_pk_add_f16 v33, v33, v34
	v_pk_add_f16 v34, v36, v37
	;; [unrolled: 1-line block ×5, first 2 shown]
	v_pk_fma_f16 v15, v33, v9, v15
	v_pk_fma_f16 v13, v34, v9, v13
	v_pk_fma_f16 v11, v0, v9, v11
	v_pk_fma_f16 v23, v1, v10, v23
	v_pk_fma_f16 v21, v36, v10, v21
	v_pack_b32_f16 v0, v46, v47
	v_perm_b32 v1, v47, v46, 0x7060302
	v_pack_b32_f16 v33, v35, v50
	v_perm_b32 v34, v50, v35, 0x7060302
	;; [unrolled: 2-line block ×5, first 2 shown]
	v_pk_add_f16 v0, v0, v1
	v_pk_add_f16 v1, v33, v34
	;; [unrolled: 1-line block ×5, first 2 shown]
	v_pk_fma_f16 v18, v0, v10, v18
	v_pk_fma_f16 v16, v1, v10, v16
	;; [unrolled: 1-line block ×5, first 2 shown]
	s_cbranch_scc1 .LBB40_54
.LBB40_37:                              ; =>This Inner Loop Header: Depth=1
	s_cmp_lg_u32 s20, s23
	s_cbranch_scc1 .LBB40_36
; %bb.38:                               ;   in Loop: Header=BB40_37 Depth=1
	s_add_i32 s18, s18, 1
                                        ; implicit-def: $vgpr2
	s_mul_i32 s26, s18, s16
	s_ashr_i32 s3, s26, 31
	s_lshr_b32 s3, s3, 27
	s_add_i32 s3, s26, s3
	s_ashr_i32 s3, s3, 5
	v_mad_u64_u32 v[0:1], null, s3, 3, v[6:7]
	v_ashrrev_i32_e32 v1, 31, v0
	v_lshlrev_b64 v[0:1], 2, v[0:1]
	v_add_co_u32 v0, s3, s10, v0
	v_add_co_ci_u32_e64 v1, null, s11, v1, s3
	global_load_dword v3, v[0:1], off
	s_and_saveexec_b32 s3, vcc_lo
	s_xor_b32 s3, exec_lo, s3
	s_cbranch_execz .LBB40_52
; %bb.39:                               ;   in Loop: Header=BB40_37 Depth=1
                                        ; implicit-def: $vgpr2
	s_and_saveexec_b32 s27, s0
	s_xor_b32 s27, exec_lo, s27
	s_cbranch_execz .LBB40_49
; %bb.40:                               ;   in Loop: Header=BB40_37 Depth=1
                                        ; implicit-def: $vgpr2
	s_and_saveexec_b32 s28, s1
	;; [unrolled: 5-line block ×3, first 2 shown]
	s_xor_b32 s29, exec_lo, s29
	s_cbranch_execz .LBB40_43
; %bb.42:                               ;   in Loop: Header=BB40_37 Depth=1
	s_waitcnt vmcnt(0)
	v_lshrrev_b32_e32 v2, v26, v3
                                        ; implicit-def: $vgpr0_vgpr1
                                        ; implicit-def: $vgpr3
.LBB40_43:                              ;   in Loop: Header=BB40_37 Depth=1
	s_andn2_saveexec_b32 s29, s29
	s_cbranch_execz .LBB40_45
; %bb.44:                               ;   in Loop: Header=BB40_37 Depth=1
	global_load_dword v0, v[0:1], off offset:4
	s_waitcnt vmcnt(0)
	v_alignbit_b32 v0, v0, v3, 28
	v_and_b32_e32 v2, 0xfff, v0
.LBB40_45:                              ;   in Loop: Header=BB40_37 Depth=1
	s_or_b32 exec_lo, exec_lo, s29
                                        ; implicit-def: $vgpr3
.LBB40_46:                              ;   in Loop: Header=BB40_37 Depth=1
	s_andn2_saveexec_b32 s28, s28
	s_cbranch_execz .LBB40_48
; %bb.47:                               ;   in Loop: Header=BB40_37 Depth=1
	s_waitcnt vmcnt(0)
	v_lshrrev_b32_e32 v2, v27, v3
.LBB40_48:                              ;   in Loop: Header=BB40_37 Depth=1
	s_or_b32 exec_lo, exec_lo, s28
                                        ; implicit-def: $vgpr0_vgpr1
                                        ; implicit-def: $vgpr3
.LBB40_49:                              ;   in Loop: Header=BB40_37 Depth=1
	s_andn2_saveexec_b32 s27, s27
	s_cbranch_execz .LBB40_51
; %bb.50:                               ;   in Loop: Header=BB40_37 Depth=1
	global_load_dword v0, v[0:1], off offset:4
	s_waitcnt vmcnt(0)
	v_perm_b32 v0, v3, v0, 0x2010007
	v_and_b32_e32 v2, 0xfff, v0
.LBB40_51:                              ;   in Loop: Header=BB40_37 Depth=1
	s_or_b32 exec_lo, exec_lo, s27
                                        ; implicit-def: $vgpr3
.LBB40_52:                              ;   in Loop: Header=BB40_37 Depth=1
	s_andn2_saveexec_b32 s3, s3
	s_cbranch_execz .LBB40_35
; %bb.53:                               ;   in Loop: Header=BB40_37 Depth=1
	s_waitcnt vmcnt(0)
	v_lshrrev_b32_e32 v2, v20, v3
	s_branch .LBB40_35
.LBB40_54:
	v_mad_u64_u32 v[0:1], null, s7, s16, v[4:5]
	s_mov_b32 s0, 0
	v_ashrrev_i32_e32 v1, 31, v0
	v_lshlrev_b64 v[1:2], 1, v[0:1]
	v_add_co_u32 v1, vcc_lo, s14, v1
	v_add_co_ci_u32_e64 v2, null, s15, v2, vcc_lo
	global_load_dword v4, v[1:2], off
.LBB40_55:                              ; =>This Inner Loop Header: Depth=1
	s_waitcnt vmcnt(0)
	v_pk_add_f16 v3, v24, v4
	global_atomic_cmpswap v3, v[1:2], v[3:4], off glc
	s_waitcnt vmcnt(0)
	v_cmp_eq_u32_e32 vcc_lo, v4, v3
	v_mov_b32_e32 v4, v3
	s_or_b32 s0, vcc_lo, s0
	s_andn2_b32 exec_lo, exec_lo, s0
	s_cbranch_execnz .LBB40_55
; %bb.56:
	s_or_b32 exec_lo, exec_lo, s0
	global_load_dword v4, v[1:2], off offset:4
	s_mov_b32 s0, 0
.LBB40_57:                              ; =>This Inner Loop Header: Depth=1
	s_waitcnt vmcnt(0)
	v_pk_add_f16 v3, v23, v4
	global_atomic_cmpswap v3, v[1:2], v[3:4], off offset:4 glc
	s_waitcnt vmcnt(0)
	v_cmp_eq_u32_e32 vcc_lo, v4, v3
	v_mov_b32_e32 v4, v3
	s_or_b32 s0, vcc_lo, s0
	s_andn2_b32 exec_lo, exec_lo, s0
	s_cbranch_execnz .LBB40_57
; %bb.58:
	s_or_b32 exec_lo, exec_lo, s0
	v_add_nc_u32_e32 v0, s16, v0
	s_mov_b32 s0, 0
	v_ashrrev_i32_e32 v1, 31, v0
	v_lshlrev_b64 v[1:2], 1, v[0:1]
	v_add_co_u32 v1, vcc_lo, s14, v1
	v_add_co_ci_u32_e64 v2, null, s15, v2, vcc_lo
	global_load_dword v4, v[1:2], off
.LBB40_59:                              ; =>This Inner Loop Header: Depth=1
	s_waitcnt vmcnt(0)
	v_pk_add_f16 v3, v22, v4
	global_atomic_cmpswap v3, v[1:2], v[3:4], off glc
	s_waitcnt vmcnt(0)
	v_cmp_eq_u32_e32 vcc_lo, v4, v3
	v_mov_b32_e32 v4, v3
	s_or_b32 s0, vcc_lo, s0
	s_andn2_b32 exec_lo, exec_lo, s0
	s_cbranch_execnz .LBB40_59
; %bb.60:
	s_or_b32 exec_lo, exec_lo, s0
	global_load_dword v4, v[1:2], off offset:4
	s_mov_b32 s0, 0
.LBB40_61:                              ; =>This Inner Loop Header: Depth=1
	s_waitcnt vmcnt(0)
	v_pk_add_f16 v3, v21, v4
	global_atomic_cmpswap v3, v[1:2], v[3:4], off offset:4 glc
	s_waitcnt vmcnt(0)
	v_cmp_eq_u32_e32 vcc_lo, v4, v3
	v_mov_b32_e32 v4, v3
	s_or_b32 s0, vcc_lo, s0
	s_andn2_b32 exec_lo, exec_lo, s0
	s_cbranch_execnz .LBB40_61
; %bb.62:
	s_or_b32 exec_lo, exec_lo, s0
	v_add_nc_u32_e32 v0, s16, v0
	;; [unrolled: 33-line block ×6, first 2 shown]
	s_mov_b32 s0, 0
	v_ashrrev_i32_e32 v1, 31, v0
	v_lshlrev_b64 v[0:1], 1, v[0:1]
	v_add_co_u32 v0, vcc_lo, s14, v0
	v_add_co_ci_u32_e64 v1, null, s15, v1, vcc_lo
	global_load_dword v3, v[0:1], off
.LBB40_79:                              ; =>This Inner Loop Header: Depth=1
	s_waitcnt vmcnt(0)
	v_pk_add_f16 v2, v11, v3
	global_atomic_cmpswap v2, v[0:1], v[2:3], off glc
	s_waitcnt vmcnt(0)
	v_cmp_eq_u32_e32 vcc_lo, v3, v2
	v_mov_b32_e32 v3, v2
	s_or_b32 s0, vcc_lo, s0
	s_andn2_b32 exec_lo, exec_lo, s0
	s_cbranch_execnz .LBB40_79
; %bb.80:
	s_or_b32 exec_lo, exec_lo, s0
	global_load_dword v3, v[0:1], off offset:4
	s_mov_b32 s0, 0
.LBB40_81:                              ; =>This Inner Loop Header: Depth=1
	s_waitcnt vmcnt(0)
	v_pk_add_f16 v2, v5, v3
	global_atomic_cmpswap v2, v[0:1], v[2:3], off offset:4 glc
	s_waitcnt vmcnt(0)
	v_cmp_eq_u32_e32 vcc_lo, v3, v2
	v_mov_b32_e32 v3, v2
	s_or_b32 s0, vcc_lo, s0
	s_andn2_b32 exec_lo, exec_lo, s0
	s_cbranch_execnz .LBB40_81
.LBB40_82:
	s_endpgm
	.section	.rodata,"a",@progbits
	.p2align	6, 0x0
	.amdhsa_kernel _ZN4vllm4gptq33gemm_half_q_half_gptq_3bit_kernelILb1ELi7EEEvPK6__halfPKjS6_S4_PS2_iiiibPKi
		.amdhsa_group_segment_fixed_size 1792
		.amdhsa_private_segment_fixed_size 0
		.amdhsa_kernarg_size 72
		.amdhsa_user_sgpr_count 6
		.amdhsa_user_sgpr_private_segment_buffer 1
		.amdhsa_user_sgpr_dispatch_ptr 0
		.amdhsa_user_sgpr_queue_ptr 0
		.amdhsa_user_sgpr_kernarg_segment_ptr 1
		.amdhsa_user_sgpr_dispatch_id 0
		.amdhsa_user_sgpr_flat_scratch_init 0
		.amdhsa_user_sgpr_private_segment_size 0
		.amdhsa_wavefront_size32 1
		.amdhsa_uses_dynamic_stack 0
		.amdhsa_system_sgpr_private_segment_wavefront_offset 0
		.amdhsa_system_sgpr_workgroup_id_x 1
		.amdhsa_system_sgpr_workgroup_id_y 1
		.amdhsa_system_sgpr_workgroup_id_z 1
		.amdhsa_system_sgpr_workgroup_info 0
		.amdhsa_system_vgpr_workitem_id 0
		.amdhsa_next_free_vgpr 124
		.amdhsa_next_free_sgpr 30
		.amdhsa_reserve_vcc 1
		.amdhsa_reserve_flat_scratch 0
		.amdhsa_float_round_mode_32 0
		.amdhsa_float_round_mode_16_64 0
		.amdhsa_float_denorm_mode_32 3
		.amdhsa_float_denorm_mode_16_64 3
		.amdhsa_dx10_clamp 1
		.amdhsa_ieee_mode 1
		.amdhsa_fp16_overflow 0
		.amdhsa_workgroup_processor_mode 1
		.amdhsa_memory_ordered 1
		.amdhsa_forward_progress 1
		.amdhsa_shared_vgpr_count 0
		.amdhsa_exception_fp_ieee_invalid_op 0
		.amdhsa_exception_fp_denorm_src 0
		.amdhsa_exception_fp_ieee_div_zero 0
		.amdhsa_exception_fp_ieee_overflow 0
		.amdhsa_exception_fp_ieee_underflow 0
		.amdhsa_exception_fp_ieee_inexact 0
		.amdhsa_exception_int_div_zero 0
	.end_amdhsa_kernel
	.section	.text._ZN4vllm4gptq33gemm_half_q_half_gptq_3bit_kernelILb1ELi7EEEvPK6__halfPKjS6_S4_PS2_iiiibPKi,"axG",@progbits,_ZN4vllm4gptq33gemm_half_q_half_gptq_3bit_kernelILb1ELi7EEEvPK6__halfPKjS6_S4_PS2_iiiibPKi,comdat
.Lfunc_end40:
	.size	_ZN4vllm4gptq33gemm_half_q_half_gptq_3bit_kernelILb1ELi7EEEvPK6__halfPKjS6_S4_PS2_iiiibPKi, .Lfunc_end40-_ZN4vllm4gptq33gemm_half_q_half_gptq_3bit_kernelILb1ELi7EEEvPK6__halfPKjS6_S4_PS2_iiiibPKi
                                        ; -- End function
	.set _ZN4vllm4gptq33gemm_half_q_half_gptq_3bit_kernelILb1ELi7EEEvPK6__halfPKjS6_S4_PS2_iiiibPKi.num_vgpr, 124
	.set _ZN4vllm4gptq33gemm_half_q_half_gptq_3bit_kernelILb1ELi7EEEvPK6__halfPKjS6_S4_PS2_iiiibPKi.num_agpr, 0
	.set _ZN4vllm4gptq33gemm_half_q_half_gptq_3bit_kernelILb1ELi7EEEvPK6__halfPKjS6_S4_PS2_iiiibPKi.numbered_sgpr, 30
	.set _ZN4vllm4gptq33gemm_half_q_half_gptq_3bit_kernelILb1ELi7EEEvPK6__halfPKjS6_S4_PS2_iiiibPKi.num_named_barrier, 0
	.set _ZN4vllm4gptq33gemm_half_q_half_gptq_3bit_kernelILb1ELi7EEEvPK6__halfPKjS6_S4_PS2_iiiibPKi.private_seg_size, 0
	.set _ZN4vllm4gptq33gemm_half_q_half_gptq_3bit_kernelILb1ELi7EEEvPK6__halfPKjS6_S4_PS2_iiiibPKi.uses_vcc, 1
	.set _ZN4vllm4gptq33gemm_half_q_half_gptq_3bit_kernelILb1ELi7EEEvPK6__halfPKjS6_S4_PS2_iiiibPKi.uses_flat_scratch, 0
	.set _ZN4vllm4gptq33gemm_half_q_half_gptq_3bit_kernelILb1ELi7EEEvPK6__halfPKjS6_S4_PS2_iiiibPKi.has_dyn_sized_stack, 0
	.set _ZN4vllm4gptq33gemm_half_q_half_gptq_3bit_kernelILb1ELi7EEEvPK6__halfPKjS6_S4_PS2_iiiibPKi.has_recursion, 0
	.set _ZN4vllm4gptq33gemm_half_q_half_gptq_3bit_kernelILb1ELi7EEEvPK6__halfPKjS6_S4_PS2_iiiibPKi.has_indirect_call, 0
	.section	.AMDGPU.csdata,"",@progbits
; Kernel info:
; codeLenInByte = 10448
; TotalNumSgprs: 32
; NumVgprs: 124
; ScratchSize: 0
; MemoryBound: 0
; FloatMode: 240
; IeeeMode: 1
; LDSByteSize: 1792 bytes/workgroup (compile time only)
; SGPRBlocks: 0
; VGPRBlocks: 15
; NumSGPRsForWavesPerEU: 32
; NumVGPRsForWavesPerEU: 124
; Occupancy: 8
; WaveLimiterHint : 0
; COMPUTE_PGM_RSRC2:SCRATCH_EN: 0
; COMPUTE_PGM_RSRC2:USER_SGPR: 6
; COMPUTE_PGM_RSRC2:TRAP_HANDLER: 0
; COMPUTE_PGM_RSRC2:TGID_X_EN: 1
; COMPUTE_PGM_RSRC2:TGID_Y_EN: 1
; COMPUTE_PGM_RSRC2:TGID_Z_EN: 1
; COMPUTE_PGM_RSRC2:TIDIG_COMP_CNT: 0
	.section	.text._ZN4vllm4gptq33gemm_half_q_half_gptq_4bit_kernelILb1ELi7EEEvPK6__halfPKjS6_S4_PS2_iiiibPKi,"axG",@progbits,_ZN4vllm4gptq33gemm_half_q_half_gptq_4bit_kernelILb1ELi7EEEvPK6__halfPKjS6_S4_PS2_iiiibPKi,comdat
	.protected	_ZN4vllm4gptq33gemm_half_q_half_gptq_4bit_kernelILb1ELi7EEEvPK6__halfPKjS6_S4_PS2_iiiibPKi ; -- Begin function _ZN4vllm4gptq33gemm_half_q_half_gptq_4bit_kernelILb1ELi7EEEvPK6__halfPKjS6_S4_PS2_iiiibPKi
	.globl	_ZN4vllm4gptq33gemm_half_q_half_gptq_4bit_kernelILb1ELi7EEEvPK6__halfPKjS6_S4_PS2_iiiibPKi
	.p2align	8
	.type	_ZN4vllm4gptq33gemm_half_q_half_gptq_4bit_kernelILb1ELi7EEEvPK6__halfPKjS6_S4_PS2_iiiibPKi,@function
_ZN4vllm4gptq33gemm_half_q_half_gptq_4bit_kernelILb1ELi7EEEvPK6__halfPKjS6_S4_PS2_iiiibPKi: ; @_ZN4vllm4gptq33gemm_half_q_half_gptq_4bit_kernelILb1ELi7EEEvPK6__halfPKjS6_S4_PS2_iiiibPKi
; %bb.0:
	s_load_dwordx4 s[0:3], s[4:5], 0x2c
	s_lshl_b32 s18, s8, 7
	s_mul_i32 s7, s7, 7
	s_add_i32 s8, s18, 0x80
	s_mov_b32 s20, exec_lo
	v_cvt_f64_u32_e32 v[1:2], s8
	s_load_dwordx8 s[8:15], s[4:5], 0x8
	s_waitcnt lgkmcnt(0)
	v_cvt_f64_i32_e32 v[3:4], s1
	v_min_f64 v[1:2], v[1:2], v[3:4]
	v_cvt_i32_f64_e32 v2, v[1:2]
	v_add_nc_u32_e32 v1, s18, v0
	v_readfirstlane_b32 s19, v2
	v_cmpx_lt_u32_e64 v1, v2
	s_cbranch_execz .LBB41_16
; %bb.1:
	s_clause 0x1
	s_load_dwordx2 s[16:17], s[4:5], 0x40
	s_load_dwordx2 s[4:5], s[4:5], 0x0
	v_mov_b32_e32 v2, 0
	v_lshlrev_b64 v[3:4], 2, v[1:2]
	v_mov_b32_e32 v6, v2
	v_mov_b32_e32 v5, v1
	s_waitcnt lgkmcnt(0)
	v_add_co_u32 v3, vcc_lo, s16, v3
	v_add_co_ci_u32_e64 v4, null, s17, v4, vcc_lo
	s_cmp_lg_u64 s[16:17], 0
	s_cselect_b32 s21, -1, 0
	s_cmp_eq_u64 s[16:17], 0
	s_cbranch_scc1 .LBB41_3
; %bb.2:
	global_load_dword v5, v[3:4], off
	s_waitcnt vmcnt(0)
	v_ashrrev_i32_e32 v6, 31, v5
.LBB41_3:
	s_mul_i32 s16, s7, s1
	v_lshlrev_b64 v[5:6], 1, v[5:6]
	s_ashr_i32 s17, s16, 31
	v_cndmask_b32_e64 v8, 0, 1, s21
	s_lshl_b64 s[22:23], s[16:17], 1
	v_lshlrev_b32_e32 v7, 1, v0
	s_add_u32 s17, s4, s22
	s_addc_u32 s22, s5, s23
	v_add_co_u32 v5, vcc_lo, s17, v5
	v_add_co_ci_u32_e64 v6, null, s22, v6, vcc_lo
	s_andn2_b32 vcc_lo, exec_lo, s21
	global_load_ushort v9, v[5:6], off
	v_mov_b32_e32 v6, v2
	v_mov_b32_e32 v5, v1
	s_waitcnt vmcnt(0)
	ds_write_b16 v7, v9
	s_cbranch_vccnz .LBB41_5
; %bb.4:
	global_load_dword v5, v[3:4], off
	s_waitcnt vmcnt(0)
	v_ashrrev_i32_e32 v6, 31, v5
.LBB41_5:
	s_add_i32 s16, s16, s1
	v_lshlrev_b64 v[5:6], 1, v[5:6]
	s_ashr_i32 s17, s16, 31
	s_lshl_b64 s[22:23], s[16:17], 1
	s_add_u32 s17, s4, s22
	s_addc_u32 s21, s5, s23
	v_add_co_u32 v5, vcc_lo, s17, v5
	v_add_co_ci_u32_e64 v6, null, s21, v6, vcc_lo
	v_cmp_ne_u32_e32 vcc_lo, 1, v8
	global_load_ushort v9, v[5:6], off
	v_mov_b32_e32 v6, v2
	v_mov_b32_e32 v5, v1
	s_waitcnt vmcnt(0)
	ds_write_b16 v7, v9 offset:256
	s_cbranch_vccnz .LBB41_7
; %bb.6:
	global_load_dword v5, v[3:4], off
	s_waitcnt vmcnt(0)
	v_ashrrev_i32_e32 v6, 31, v5
.LBB41_7:
	s_add_i32 s16, s16, s1
	v_lshlrev_b64 v[5:6], 1, v[5:6]
	s_ashr_i32 s17, s16, 31
	s_lshl_b64 s[22:23], s[16:17], 1
	s_add_u32 s17, s4, s22
	s_addc_u32 s21, s5, s23
	v_add_co_u32 v5, vcc_lo, s17, v5
	v_add_co_ci_u32_e64 v6, null, s21, v6, vcc_lo
	v_cmp_ne_u32_e32 vcc_lo, 1, v8
	global_load_ushort v9, v[5:6], off
	v_mov_b32_e32 v6, v2
	v_mov_b32_e32 v5, v1
	s_waitcnt vmcnt(0)
	ds_write_b16 v7, v9 offset:512
	s_cbranch_vccnz .LBB41_9
; %bb.8:
	global_load_dword v5, v[3:4], off
	s_waitcnt vmcnt(0)
	v_ashrrev_i32_e32 v6, 31, v5
.LBB41_9:
	s_add_i32 s16, s16, s1
	v_lshlrev_b64 v[5:6], 1, v[5:6]
	s_ashr_i32 s17, s16, 31
	s_lshl_b64 s[22:23], s[16:17], 1
	s_add_u32 s17, s4, s22
	s_addc_u32 s21, s5, s23
	v_add_co_u32 v5, vcc_lo, s17, v5
	v_add_co_ci_u32_e64 v6, null, s21, v6, vcc_lo
	v_cmp_ne_u32_e32 vcc_lo, 1, v8
	global_load_ushort v9, v[5:6], off
	v_mov_b32_e32 v6, v2
	v_mov_b32_e32 v5, v1
	s_waitcnt vmcnt(0)
	ds_write_b16 v7, v9 offset:768
	s_cbranch_vccnz .LBB41_11
; %bb.10:
	global_load_dword v5, v[3:4], off
	s_waitcnt vmcnt(0)
	v_ashrrev_i32_e32 v6, 31, v5
.LBB41_11:
	s_add_i32 s16, s16, s1
	v_lshlrev_b64 v[5:6], 1, v[5:6]
	s_ashr_i32 s17, s16, 31
	s_lshl_b64 s[22:23], s[16:17], 1
	s_add_u32 s17, s4, s22
	s_addc_u32 s21, s5, s23
	v_add_co_u32 v5, vcc_lo, s17, v5
	v_add_co_ci_u32_e64 v6, null, s21, v6, vcc_lo
	v_cmp_ne_u32_e32 vcc_lo, 1, v8
	global_load_ushort v9, v[5:6], off
	v_mov_b32_e32 v6, v2
	v_mov_b32_e32 v5, v1
	s_waitcnt vmcnt(0)
	ds_write_b16 v7, v9 offset:1024
	s_cbranch_vccnz .LBB41_13
; %bb.12:
	global_load_dword v5, v[3:4], off
	s_waitcnt vmcnt(0)
	v_ashrrev_i32_e32 v6, 31, v5
.LBB41_13:
	s_add_i32 s16, s16, s1
	v_lshlrev_b64 v[5:6], 1, v[5:6]
	s_ashr_i32 s17, s16, 31
	s_lshl_b64 s[22:23], s[16:17], 1
	s_add_u32 s17, s4, s22
	s_addc_u32 s21, s5, s23
	v_add_co_u32 v5, vcc_lo, s17, v5
	v_add_co_ci_u32_e64 v6, null, s21, v6, vcc_lo
	v_cmp_ne_u32_e32 vcc_lo, 1, v8
	global_load_ushort v5, v[5:6], off
	s_waitcnt vmcnt(0)
	ds_write_b16 v7, v5 offset:1280
	s_cbranch_vccnz .LBB41_15
; %bb.14:
	global_load_dword v1, v[3:4], off
	s_waitcnt vmcnt(0)
	v_ashrrev_i32_e32 v2, 31, v1
.LBB41_15:
	s_add_i32 s16, s16, s1
	v_lshlrev_b64 v[1:2], 1, v[1:2]
	s_ashr_i32 s17, s16, 31
	s_lshl_b64 s[16:17], s[16:17], 1
	s_add_u32 s4, s4, s16
	s_addc_u32 s5, s5, s17
	v_add_co_u32 v1, vcc_lo, s4, v1
	v_add_co_ci_u32_e64 v2, null, s5, v2, vcc_lo
	global_load_ushort v1, v[1:2], off
	s_waitcnt vmcnt(0)
	ds_write_b16 v7, v1 offset:1536
.LBB41_16:
	s_or_b32 exec_lo, exec_lo, s20
	v_lshlrev_b32_e32 v1, 2, v0
	s_mov_b32 s4, exec_lo
	v_lshl_add_u32 v1, s6, 9, v1
	v_cmpx_gt_i32_e64 s0, v1
	s_cbranch_execz .LBB41_50
; %bb.17:
	s_abs_i32 s4, s2
	v_mov_b32_e32 v11, 0
	v_cvt_f32_u32_e32 v2, s4
	v_mov_b32_e32 v8, 0
	v_mov_b32_e32 v9, 0
	;; [unrolled: 1-line block ×4, first 2 shown]
	v_rcp_iflag_f32_e32 v2, v2
	v_mov_b32_e32 v13, 0
	v_mov_b32_e32 v14, 0
	;; [unrolled: 1-line block ×9, first 2 shown]
	v_mul_f32_e32 v2, 0x4f7ffffe, v2
	v_mov_b32_e32 v22, 0
	v_mov_b32_e32 v23, 0
	v_mov_b32_e32 v24, 0
	v_mov_b32_e32 v25, 0
	v_cvt_u32_f32_e32 v2, v2
	v_mov_b32_e32 v26, 0
	v_mov_b32_e32 v27, 0
	;; [unrolled: 1-line block ×4, first 2 shown]
	v_readfirstlane_b32 s5, v2
	v_mov_b32_e32 v30, 0
	v_mov_b32_e32 v31, 0
	;; [unrolled: 1-line block ×6, first 2 shown]
	s_cmp_ge_i32 s18, s19
	s_waitcnt lgkmcnt(0)
	s_barrier
	buffer_gl0_inv
	s_cbranch_scc1 .LBB41_22
; %bb.18:
	s_sub_i32 s6, 0, s4
	s_abs_i32 s16, s1
	s_mul_i32 s6, s6, s5
	s_ashr_i32 s1, s1, 31
	s_mul_hi_u32 s6, s5, s6
	s_ashr_i32 s2, s2, 31
	s_add_i32 s5, s5, s6
	s_xor_b32 s1, s1, s2
	s_mul_hi_u32 s5, s16, s5
	s_mov_b32 s20, 0xe400e400
	s_mul_i32 s6, s5, s4
	v_mov_b32_e32 v35, 0
	s_sub_i32 s2, s16, s6
	s_add_i32 s6, s5, 1
	s_sub_i32 s16, s2, s4
	s_cmp_ge_u32 s2, s4
	v_mov_b32_e32 v36, 0
	s_cselect_b32 s5, s6, s5
	s_cselect_b32 s2, s16, s2
	s_add_i32 s6, s5, 1
	s_cmp_ge_u32 s2, s4
	v_mov_b32_e32 v34, 0
	s_cselect_b32 s2, s6, s5
	v_mov_b32_e32 v32, 0
	s_xor_b32 s2, s2, s1
	v_mov_b32_e32 v31, 0
	s_sub_i32 s6, s2, s1
	s_bitcmp1_b32 s3, 0
	v_cvt_f32_u32_e32 v2, s6
	s_cselect_b32 s2, -1, 0
	s_sub_i32 s3, 0, s6
	s_xor_b32 s4, s2, -1
	v_mov_b32_e32 v30, 0
	v_rcp_iflag_f32_e32 v2, v2
	v_cndmask_b32_e64 v38, 0, 1, s4
	v_mov_b32_e32 v29, 0
	v_mov_b32_e32 v28, 0
	;; [unrolled: 1-line block ×8, first 2 shown]
	v_mul_f32_e32 v2, 0x4f7ffffe, v2
	v_mov_b32_e32 v21, 0
	v_mov_b32_e32 v20, 0
	;; [unrolled: 1-line block ×4, first 2 shown]
	v_cvt_u32_f32_e32 v2, v2
	v_mov_b32_e32 v17, 0
	v_mov_b32_e32 v16, 0
	v_mov_b32_e32 v15, 0
	v_mov_b32_e32 v14, 0
	v_readfirstlane_b32 s1, v2
	v_ashrrev_i32_e32 v2, 31, v1
	v_mov_b32_e32 v13, 0
	v_mov_b32_e32 v12, 0
	;; [unrolled: 1-line block ×3, first 2 shown]
	s_mul_i32 s3, s3, s1
	v_lshrrev_b32_e32 v3, 29, v2
	s_mul_hi_u32 s3, s1, s3
	v_mov_b32_e32 v9, 0
	s_add_i32 s1, s1, s3
	v_mov_b32_e32 v8, 0
	s_mul_hi_u32 s1, s18, s1
	v_add_nc_u32_e32 v3, v1, v3
	s_mul_i32 s3, s1, s6
	s_mov_b32 s17, 0
	s_sub_i32 s2, s18, s3
	s_add_i32 s3, s1, 1
	s_sub_i32 s5, s2, s6
	s_cmp_ge_u32 s2, s6
	v_ashrrev_i32_e32 v33, 3, v3
	s_cselect_b32 s1, s3, s1
	s_cselect_b32 s2, s5, s2
	s_add_i32 s3, s1, 1
	s_cmp_ge_u32 s2, s6
	s_cselect_b32 s16, s3, s1
	s_mul_i32 s1, s16, s0
	s_ashr_i32 s2, s1, 31
	v_add_nc_u32_e32 v5, s1, v1
	s_lshr_b32 s2, s2, 29
	s_add_i32 s2, s1, s2
	s_lshr_b32 s1, s18, 3
	s_ashr_i32 s2, s2, 3
	v_ashrrev_i32_e32 v6, 31, v5
	v_add_nc_u32_e32 v3, s2, v33
	s_mul_i32 s2, s0, s1
	s_ashr_i32 s3, s2, 31
	v_lshlrev_b64 v[5:6], 1, v[5:6]
	v_ashrrev_i32_e32 v4, 31, v3
	s_lshl_b64 s[2:3], s[2:3], 2
	s_add_u32 s2, s8, s2
	s_addc_u32 s3, s9, s3
	v_lshlrev_b64 v[3:4], 2, v[3:4]
	s_ashr_i32 s1, s0, 31
	s_add_i32 s8, s6, s18
	s_lshl_b64 s[4:5], s[0:1], 2
	s_mov_b32 s9, 0xf000f0
	v_add_co_u32 v3, vcc_lo, s10, v3
	v_add_co_ci_u32_e64 v4, null, s11, v4, vcc_lo
	v_add_co_u32 v5, vcc_lo, s12, v5
	v_add_co_ci_u32_e64 v6, null, s13, v6, vcc_lo
	global_load_dword v7, v[3:4], off
	global_load_dwordx2 v[4:5], v[5:6], off
	v_lshlrev_b32_e32 v6, 4, v0
	v_lshlrev_b64 v[2:3], 2, v[1:2]
	v_mov_b32_e32 v0, 0x10001
	v_and_b32_e32 v37, 16, v6
	v_add_co_u32 v2, vcc_lo, s2, v2
	v_add_co_ci_u32_e64 v3, null, s3, v3, vcc_lo
	s_lshl_b64 s[2:3], s[0:1], 4
	s_mov_b32 s1, 0xf000f
	s_waitcnt vmcnt(1)
	v_lshrrev_b32_e32 v6, v6, v7
	s_waitcnt vmcnt(0)
	v_cvt_f32_f16_sdwa v42, v5 dst_sel:DWORD dst_unused:UNUSED_PAD src0_sel:WORD_1
	v_cvt_f32_f16_e32 v39, v5
	v_bfe_u32 v5, v7, v37, 4
	v_cvt_f32_f16_sdwa v40, v4 dst_sel:DWORD dst_unused:UNUSED_PAD src0_sel:WORD_1
	v_bfe_u32 v7, v6, 12, 4
	v_bfe_u32 v11, v6, 8, 4
	;; [unrolled: 1-line block ×3, first 2 shown]
	v_add_nc_u32_e32 v5, v5, v38
	v_cvt_f32_f16_e32 v41, v4
	v_add_nc_u32_e32 v4, v7, v38
	v_add_nc_u32_e32 v7, v11, v38
	v_add_nc_u32_e32 v6, v6, v38
	v_cvt_f32_ubyte0_e32 v11, v5
	v_mad_u32_u24 v43, 0x10001, v5, s20
	v_cvt_f32_ubyte0_e32 v5, v4
	v_cvt_f32_ubyte0_e32 v45, v7
	;; [unrolled: 1-line block ×3, first 2 shown]
	v_mad_u32_u24 v44, 0x10001, v4, s20
	v_cvt_f16_f32_e32 v4, v11
	v_cvt_f16_f32_e32 v5, v5
	;; [unrolled: 1-line block ×4, first 2 shown]
	v_mad_u32_u24 v45, 0x10001, v7, s20
	v_sub_f16_e32 v4, 0xd400, v4
	v_sub_f16_e32 v5, 0xd400, v5
	;; [unrolled: 1-line block ×4, first 2 shown]
	v_mad_u32_u24 v46, 0x10001, v6, s20
	v_mul_u32_u24_sdwa v47, v4, v0 dst_sel:DWORD dst_unused:UNUSED_PAD src0_sel:WORD_0 src1_sel:DWORD
	v_mul_u32_u24_sdwa v48, v5, v0 dst_sel:DWORD dst_unused:UNUSED_PAD src0_sel:WORD_0 src1_sel:DWORD
	;; [unrolled: 1-line block ×4, first 2 shown]
	v_mov_b32_e32 v11, 0
	s_branch .LBB41_20
.LBB41_19:                              ;   in Loop: Header=BB41_20 Depth=1
	global_load_dwordx4 v[57:60], v[2:3], off
	s_add_i32 s21, s17, 0x400
	s_add_i32 s18, s18, 32
	s_waitcnt vmcnt(0)
	v_lshrrev_b32_e32 v6, 8, v57
	v_and_or_b32 v4, v57, s1, 0x64006400
	v_and_or_b32 v5, v57, s9, 0x64006400
	v_lshrrev_b32_e32 v56, 8, v59
	v_and_or_b32 v53, v58, s9, 0x64006400
	v_and_or_b32 v51, v6, s1, 0x64006400
	;; [unrolled: 1-line block ×3, first 2 shown]
	v_pk_add_f16 v7, v43, v4
	v_pk_fma_f16 v6, 0x2c00, v5, v47 op_sel_hi:[0,1,1]
	v_and_or_b32 v57, v59, s9, 0x64006400
	v_pk_add_f16 v4, v43, v51
	v_pk_fma_f16 v5, 0x2c00, v52, v47 op_sel_hi:[0,1,1]
	v_and_or_b32 v51, v58, s1, 0x64006400
	v_lshrrev_b32_e32 v52, 8, v58
	v_and_or_b32 v58, v56, s1, 0x64006400
	v_and_or_b32 v61, v60, s9, 0x64006400
	v_pk_fma_f16 v53, 0x2c00, v53, v50 op_sel_hi:[0,1,1]
	v_pk_fma_f16 v57, 0x2c00, v57, v49 op_sel_hi:[0,1,1]
	v_and_or_b32 v54, v52, s1, 0x64006400
	v_and_or_b32 v55, v52, s9, 0x64006400
	v_pk_add_f16 v52, v46, v51
	v_and_or_b32 v51, v59, s1, 0x64006400
	v_and_or_b32 v59, v56, s9, 0x64006400
	v_pk_fma_f16 v65, 0x2c00, v61, v48 op_sel_hi:[0,1,1]
	v_pk_add_f16 v54, v46, v54
	v_pk_fma_f16 v55, 0x2c00, v55, v50 op_sel_hi:[0,1,1]
	v_pk_add_f16 v56, v45, v51
	v_and_or_b32 v51, v60, s1, 0x64006400
	v_lshrrev_b32_e32 v60, 8, v60
	v_pk_add_f16 v58, v45, v58
	v_pk_fma_f16 v59, 0x2c00, v59, v49 op_sel_hi:[0,1,1]
	v_pk_add_f16 v64, v44, v51
	v_and_or_b32 v62, v60, s1, 0x64006400
	v_and_or_b32 v60, v60, s9, 0x64006400
	v_mov_b32_e32 v51, s17
	v_pk_add_f16 v66, v44, v62
	v_pk_fma_f16 v67, 0x2c00, v60, v48 op_sel_hi:[0,1,1]
	ds_read2_b32 v[60:61], v51 offset1:1
	s_waitcnt lgkmcnt(0)
	v_pk_fma_f16 v62, v7, v60, 0
	v_pk_fma_f16 v68, v6, v61, v62
	ds_read2_b32 v[62:63], v51 offset0:2 offset1:3
	s_waitcnt lgkmcnt(0)
	v_pk_fma_f16 v68, v4, v62, v68
	v_pk_fma_f16 v68, v5, v63, v68
	v_cvt_f32_f16_e32 v69, v68
	v_cvt_f32_f16_sdwa v68, v68 dst_sel:DWORD dst_unused:UNUSED_PAD src0_sel:WORD_1
	v_add_f32_e32 v68, v69, v68
	v_fmac_f32_e32 v35, v68, v41
	v_pk_fma_f16 v68, v52, v60, 0
	v_pk_fma_f16 v68, v53, v61, v68
	v_pk_fma_f16 v68, v54, v62, v68
	v_pk_fma_f16 v68, v55, v63, v68
	v_cvt_f32_f16_e32 v69, v68
	v_cvt_f32_f16_sdwa v68, v68 dst_sel:DWORD dst_unused:UNUSED_PAD src0_sel:WORD_1
	v_add_f32_e32 v68, v69, v68
	v_fmac_f32_e32 v36, v68, v40
	v_pk_fma_f16 v68, v56, v60, 0
	v_pk_fma_f16 v60, v64, v60, 0
	v_pk_fma_f16 v68, v57, v61, v68
	v_pk_fma_f16 v60, v65, v61, v60
	v_pk_fma_f16 v68, v58, v62, v68
	v_pk_fma_f16 v60, v66, v62, v60
	v_pk_fma_f16 v68, v59, v63, v68
	v_pk_fma_f16 v60, v67, v63, v60
	v_cvt_f32_f16_e32 v69, v68
	v_cvt_f32_f16_e32 v61, v60
	v_cvt_f32_f16_sdwa v60, v60 dst_sel:DWORD dst_unused:UNUSED_PAD src0_sel:WORD_1
	v_cvt_f32_f16_sdwa v68, v68 dst_sel:DWORD dst_unused:UNUSED_PAD src0_sel:WORD_1
	v_add_f32_e32 v60, v61, v60
	v_add_f32_e32 v68, v69, v68
	v_fmac_f32_e32 v32, v60, v42
	ds_read2_b32 v[60:61], v51 offset0:64 offset1:65
	v_fmac_f32_e32 v34, v68, v39
	s_waitcnt lgkmcnt(0)
	v_pk_fma_f16 v62, v7, v60, 0
	v_pk_fma_f16 v68, v6, v61, v62
	ds_read2_b32 v[62:63], v51 offset0:66 offset1:67
	s_waitcnt lgkmcnt(0)
	v_pk_fma_f16 v68, v4, v62, v68
	v_pk_fma_f16 v68, v5, v63, v68
	v_cvt_f32_f16_e32 v69, v68
	v_cvt_f32_f16_sdwa v68, v68 dst_sel:DWORD dst_unused:UNUSED_PAD src0_sel:WORD_1
	v_add_f32_e32 v68, v69, v68
	v_fmac_f32_e32 v31, v68, v41
	v_pk_fma_f16 v68, v52, v60, 0
	v_pk_fma_f16 v68, v53, v61, v68
	v_pk_fma_f16 v68, v54, v62, v68
	v_pk_fma_f16 v68, v55, v63, v68
	v_cvt_f32_f16_e32 v69, v68
	v_cvt_f32_f16_sdwa v68, v68 dst_sel:DWORD dst_unused:UNUSED_PAD src0_sel:WORD_1
	v_add_f32_e32 v68, v69, v68
	v_fmac_f32_e32 v30, v68, v40
	v_pk_fma_f16 v68, v56, v60, 0
	v_pk_fma_f16 v60, v64, v60, 0
	v_pk_fma_f16 v68, v57, v61, v68
	v_pk_fma_f16 v60, v65, v61, v60
	v_pk_fma_f16 v68, v58, v62, v68
	v_pk_fma_f16 v60, v66, v62, v60
	v_pk_fma_f16 v68, v59, v63, v68
	v_pk_fma_f16 v60, v67, v63, v60
	v_cvt_f32_f16_e32 v69, v68
	v_cvt_f32_f16_e32 v61, v60
	v_cvt_f32_f16_sdwa v60, v60 dst_sel:DWORD dst_unused:UNUSED_PAD src0_sel:WORD_1
	v_cvt_f32_f16_sdwa v68, v68 dst_sel:DWORD dst_unused:UNUSED_PAD src0_sel:WORD_1
	v_add_f32_e32 v60, v61, v60
	v_add_f32_e32 v68, v69, v68
	v_fmac_f32_e32 v28, v60, v42
	ds_read2_b32 v[60:61], v51 offset0:128 offset1:129
	v_fmac_f32_e32 v29, v68, v39
	;; [unrolled: 36-line block ×3, first 2 shown]
	s_waitcnt lgkmcnt(0)
	v_pk_fma_f16 v62, v7, v60, 0
	v_pk_fma_f16 v68, v6, v61, v62
	ds_read2_b32 v[62:63], v51 offset0:194 offset1:195
	s_waitcnt lgkmcnt(0)
	v_pk_fma_f16 v68, v4, v62, v68
	v_pk_fma_f16 v68, v5, v63, v68
	v_cvt_f32_f16_e32 v69, v68
	v_cvt_f32_f16_sdwa v68, v68 dst_sel:DWORD dst_unused:UNUSED_PAD src0_sel:WORD_1
	v_add_f32_e32 v68, v69, v68
	v_fmac_f32_e32 v23, v68, v41
	v_pk_fma_f16 v68, v52, v60, 0
	v_pk_fma_f16 v68, v53, v61, v68
	v_pk_fma_f16 v68, v54, v62, v68
	v_pk_fma_f16 v68, v55, v63, v68
	v_cvt_f32_f16_e32 v69, v68
	v_cvt_f32_f16_sdwa v68, v68 dst_sel:DWORD dst_unused:UNUSED_PAD src0_sel:WORD_1
	v_add_f32_e32 v68, v69, v68
	v_fmac_f32_e32 v22, v68, v40
	v_pk_fma_f16 v68, v56, v60, 0
	v_pk_fma_f16 v60, v64, v60, 0
	v_pk_fma_f16 v68, v57, v61, v68
	v_pk_fma_f16 v60, v65, v61, v60
	v_pk_fma_f16 v68, v58, v62, v68
	v_pk_fma_f16 v60, v66, v62, v60
	v_pk_fma_f16 v68, v59, v63, v68
	v_pk_fma_f16 v60, v67, v63, v60
	v_cvt_f32_f16_e32 v69, v68
	v_cvt_f32_f16_e32 v61, v60
	v_cvt_f32_f16_sdwa v60, v60 dst_sel:DWORD dst_unused:UNUSED_PAD src0_sel:WORD_1
	v_cvt_f32_f16_sdwa v68, v68 dst_sel:DWORD dst_unused:UNUSED_PAD src0_sel:WORD_1
	v_add_f32_e32 v60, v61, v60
	v_add_f32_e32 v68, v69, v68
	v_fmac_f32_e32 v20, v60, v42
	v_mov_b32_e32 v60, s21
	s_add_i32 s21, s17, 0x408
	v_fmac_f32_e32 v21, v68, v39
	ds_read2_b32 v[60:61], v60 offset1:1
	s_waitcnt lgkmcnt(0)
	v_pk_fma_f16 v62, v7, v60, 0
	v_pk_fma_f16 v68, v6, v61, v62
	v_mov_b32_e32 v62, s21
	s_add_i32 s21, s17, 0x500
	ds_read2_b32 v[62:63], v62 offset1:1
	s_waitcnt lgkmcnt(0)
	v_pk_fma_f16 v68, v4, v62, v68
	v_pk_fma_f16 v68, v5, v63, v68
	v_cvt_f32_f16_e32 v69, v68
	v_cvt_f32_f16_sdwa v68, v68 dst_sel:DWORD dst_unused:UNUSED_PAD src0_sel:WORD_1
	v_add_f32_e32 v68, v69, v68
	v_fmac_f32_e32 v19, v68, v41
	v_pk_fma_f16 v68, v52, v60, 0
	v_pk_fma_f16 v68, v53, v61, v68
	v_pk_fma_f16 v68, v54, v62, v68
	v_pk_fma_f16 v68, v55, v63, v68
	v_cvt_f32_f16_e32 v69, v68
	v_cvt_f32_f16_sdwa v68, v68 dst_sel:DWORD dst_unused:UNUSED_PAD src0_sel:WORD_1
	v_add_f32_e32 v68, v69, v68
	v_fmac_f32_e32 v18, v68, v40
	v_pk_fma_f16 v68, v56, v60, 0
	v_pk_fma_f16 v60, v64, v60, 0
	v_pk_fma_f16 v68, v57, v61, v68
	v_pk_fma_f16 v60, v65, v61, v60
	v_pk_fma_f16 v68, v58, v62, v68
	v_pk_fma_f16 v60, v66, v62, v60
	v_pk_fma_f16 v68, v59, v63, v68
	v_pk_fma_f16 v60, v67, v63, v60
	v_cvt_f32_f16_e32 v69, v68
	v_cvt_f32_f16_e32 v61, v60
	v_cvt_f32_f16_sdwa v60, v60 dst_sel:DWORD dst_unused:UNUSED_PAD src0_sel:WORD_1
	v_cvt_f32_f16_sdwa v68, v68 dst_sel:DWORD dst_unused:UNUSED_PAD src0_sel:WORD_1
	v_add_f32_e32 v60, v61, v60
	v_add_f32_e32 v68, v69, v68
	v_fmac_f32_e32 v16, v60, v42
	v_mov_b32_e32 v60, s21
	s_add_i32 s21, s17, 0x508
	v_fmac_f32_e32 v17, v68, v39
	ds_read2_b32 v[60:61], v60 offset1:1
	s_waitcnt lgkmcnt(0)
	v_pk_fma_f16 v62, v7, v60, 0
	v_pk_fma_f16 v68, v6, v61, v62
	v_mov_b32_e32 v62, s21
	s_add_i32 s21, s17, 0x600
	ds_read2_b32 v[62:63], v62 offset1:1
	;; [unrolled: 40-line block ×3, first 2 shown]
	s_waitcnt lgkmcnt(0)
	v_pk_fma_f16 v4, v4, v6, v62
	v_pk_fma_f16 v4, v5, v7, v4
	v_cvt_f32_f16_e32 v5, v4
	v_cvt_f32_f16_sdwa v4, v4 dst_sel:DWORD dst_unused:UNUSED_PAD src0_sel:WORD_1
	v_add_f32_e32 v4, v5, v4
	v_fmac_f32_e32 v10, v4, v41
	v_pk_fma_f16 v4, v52, v60, 0
	v_pk_fma_f16 v4, v53, v61, v4
	v_pk_fma_f16 v4, v54, v6, v4
	v_pk_fma_f16 v4, v55, v7, v4
	v_cvt_f32_f16_e32 v5, v4
	v_cvt_f32_f16_sdwa v4, v4 dst_sel:DWORD dst_unused:UNUSED_PAD src0_sel:WORD_1
	v_add_f32_e32 v4, v5, v4
	v_fmac_f32_e32 v9, v4, v40
	v_pk_fma_f16 v4, v56, v60, 0
	v_pk_fma_f16 v4, v57, v61, v4
	;; [unrolled: 8-line block ×3, first 2 shown]
	v_pk_fma_f16 v4, v66, v6, v4
	v_pk_fma_f16 v4, v67, v7, v4
	v_cvt_f32_f16_e32 v5, v4
	v_cvt_f32_f16_sdwa v4, v4 dst_sel:DWORD dst_unused:UNUSED_PAD src0_sel:WORD_1
	v_add_f32_e32 v4, v5, v4
	v_fmac_f32_e32 v11, v4, v42
	v_add_co_u32 v4, vcc_lo, v2, s4
	v_add_co_ci_u32_e64 v5, null, s5, v3, vcc_lo
	global_load_dwordx4 v[59:62], v[4:5], off
	v_add_co_u32 v4, vcc_lo, v4, s4
	v_add_co_ci_u32_e64 v5, null, s5, v5, vcc_lo
	s_waitcnt vmcnt(0)
	v_lshrrev_b32_e32 v52, 8, v59
	v_and_or_b32 v6, v59, s1, 0x64006400
	v_and_or_b32 v7, v59, s9, 0x64006400
	;; [unrolled: 1-line block ×4, first 2 shown]
	v_pk_add_f16 v67, v43, v6
	v_pk_fma_f16 v66, 0x2c00, v7, v47 op_sel_hi:[0,1,1]
	v_and_or_b32 v6, v60, s1, 0x64006400
	v_pk_add_f16 v64, v43, v53
	v_pk_fma_f16 v65, 0x2c00, v52, v47 op_sel_hi:[0,1,1]
	v_lshrrev_b32_e32 v52, 8, v60
	v_and_or_b32 v7, v60, s9, 0x64006400
	v_pk_add_f16 v54, v46, v6
	v_and_or_b32 v6, v61, s1, 0x64006400
	v_and_or_b32 v53, v52, s1, 0x64006400
	;; [unrolled: 1-line block ×3, first 2 shown]
	v_pk_fma_f16 v55, 0x2c00, v7, v50 op_sel_hi:[0,1,1]
	v_and_or_b32 v7, v61, s9, 0x64006400
	v_pk_add_f16 v58, v45, v6
	v_pk_add_f16 v56, v46, v53
	v_pk_fma_f16 v57, 0x2c00, v52, v50 op_sel_hi:[0,1,1]
	v_lshrrev_b32_e32 v52, 8, v61
	v_pk_fma_f16 v59, 0x2c00, v7, v49 op_sel_hi:[0,1,1]
	v_and_or_b32 v6, v62, s1, 0x64006400
	v_and_or_b32 v7, v62, s9, 0x64006400
	;; [unrolled: 1-line block ×4, first 2 shown]
	v_pk_fma_f16 v63, 0x2c00, v7, v48 op_sel_hi:[0,1,1]
	v_pk_add_f16 v60, v45, v53
	v_pk_fma_f16 v61, 0x2c00, v52, v49 op_sel_hi:[0,1,1]
	v_lshrrev_b32_e32 v52, 8, v62
	v_pk_add_f16 v62, v44, v6
	ds_read2_b32 v[6:7], v51 offset0:4 offset1:5
	v_and_or_b32 v53, v52, s1, 0x64006400
	v_and_or_b32 v52, v52, s9, 0x64006400
	v_pk_add_f16 v53, v44, v53
	v_pk_fma_f16 v52, 0x2c00, v52, v48 op_sel_hi:[0,1,1]
	s_waitcnt lgkmcnt(0)
	v_pk_fma_f16 v68, v67, v6, 0
	v_pk_fma_f16 v70, v66, v7, v68
	ds_read2_b32 v[68:69], v51 offset0:6 offset1:7
	s_waitcnt lgkmcnt(0)
	v_pk_fma_f16 v70, v64, v68, v70
	v_pk_fma_f16 v70, v65, v69, v70
	v_cvt_f32_f16_e32 v71, v70
	v_cvt_f32_f16_sdwa v70, v70 dst_sel:DWORD dst_unused:UNUSED_PAD src0_sel:WORD_1
	v_add_f32_e32 v70, v71, v70
	v_fmac_f32_e32 v35, v70, v41
	v_pk_fma_f16 v70, v54, v6, 0
	v_pk_fma_f16 v70, v55, v7, v70
	v_pk_fma_f16 v70, v56, v68, v70
	v_pk_fma_f16 v70, v57, v69, v70
	v_cvt_f32_f16_e32 v71, v70
	v_cvt_f32_f16_sdwa v70, v70 dst_sel:DWORD dst_unused:UNUSED_PAD src0_sel:WORD_1
	v_add_f32_e32 v70, v71, v70
	v_fmac_f32_e32 v36, v70, v40
	v_pk_fma_f16 v70, v58, v6, 0
	v_pk_fma_f16 v6, v62, v6, 0
	v_pk_fma_f16 v70, v59, v7, v70
	v_pk_fma_f16 v6, v63, v7, v6
	v_pk_fma_f16 v70, v60, v68, v70
	v_pk_fma_f16 v6, v53, v68, v6
	v_pk_fma_f16 v70, v61, v69, v70
	v_pk_fma_f16 v6, v52, v69, v6
	v_cvt_f32_f16_e32 v71, v70
	v_cvt_f32_f16_e32 v7, v6
	v_cvt_f32_f16_sdwa v6, v6 dst_sel:DWORD dst_unused:UNUSED_PAD src0_sel:WORD_1
	v_cvt_f32_f16_sdwa v70, v70 dst_sel:DWORD dst_unused:UNUSED_PAD src0_sel:WORD_1
	v_add_f32_e32 v6, v7, v6
	v_add_f32_e32 v70, v71, v70
	v_fmac_f32_e32 v32, v6, v42
	ds_read2_b32 v[6:7], v51 offset0:68 offset1:69
	v_fmac_f32_e32 v34, v70, v39
	s_waitcnt lgkmcnt(0)
	v_pk_fma_f16 v68, v67, v6, 0
	v_pk_fma_f16 v70, v66, v7, v68
	ds_read2_b32 v[68:69], v51 offset0:70 offset1:71
	s_waitcnt lgkmcnt(0)
	v_pk_fma_f16 v70, v64, v68, v70
	v_pk_fma_f16 v70, v65, v69, v70
	v_cvt_f32_f16_e32 v71, v70
	v_cvt_f32_f16_sdwa v70, v70 dst_sel:DWORD dst_unused:UNUSED_PAD src0_sel:WORD_1
	v_add_f32_e32 v70, v71, v70
	v_fmac_f32_e32 v31, v70, v41
	v_pk_fma_f16 v70, v54, v6, 0
	v_pk_fma_f16 v70, v55, v7, v70
	v_pk_fma_f16 v70, v56, v68, v70
	v_pk_fma_f16 v70, v57, v69, v70
	v_cvt_f32_f16_e32 v71, v70
	v_cvt_f32_f16_sdwa v70, v70 dst_sel:DWORD dst_unused:UNUSED_PAD src0_sel:WORD_1
	v_add_f32_e32 v70, v71, v70
	v_fmac_f32_e32 v30, v70, v40
	v_pk_fma_f16 v70, v58, v6, 0
	v_pk_fma_f16 v6, v62, v6, 0
	v_pk_fma_f16 v70, v59, v7, v70
	v_pk_fma_f16 v6, v63, v7, v6
	v_pk_fma_f16 v70, v60, v68, v70
	v_pk_fma_f16 v6, v53, v68, v6
	v_pk_fma_f16 v70, v61, v69, v70
	v_pk_fma_f16 v6, v52, v69, v6
	v_cvt_f32_f16_e32 v71, v70
	v_cvt_f32_f16_e32 v7, v6
	v_cvt_f32_f16_sdwa v6, v6 dst_sel:DWORD dst_unused:UNUSED_PAD src0_sel:WORD_1
	v_cvt_f32_f16_sdwa v70, v70 dst_sel:DWORD dst_unused:UNUSED_PAD src0_sel:WORD_1
	v_add_f32_e32 v6, v7, v6
	v_add_f32_e32 v70, v71, v70
	v_fmac_f32_e32 v28, v6, v42
	ds_read2_b32 v[6:7], v51 offset0:132 offset1:133
	v_fmac_f32_e32 v29, v70, v39
	;; [unrolled: 36-line block ×3, first 2 shown]
	s_waitcnt lgkmcnt(0)
	v_pk_fma_f16 v68, v67, v6, 0
	v_pk_fma_f16 v70, v66, v7, v68
	ds_read2_b32 v[68:69], v51 offset0:198 offset1:199
	s_waitcnt lgkmcnt(0)
	v_pk_fma_f16 v70, v64, v68, v70
	v_pk_fma_f16 v70, v65, v69, v70
	v_cvt_f32_f16_e32 v71, v70
	v_cvt_f32_f16_sdwa v70, v70 dst_sel:DWORD dst_unused:UNUSED_PAD src0_sel:WORD_1
	v_add_f32_e32 v70, v71, v70
	v_fmac_f32_e32 v23, v70, v41
	v_pk_fma_f16 v70, v54, v6, 0
	v_pk_fma_f16 v70, v55, v7, v70
	;; [unrolled: 1-line block ×4, first 2 shown]
	v_cvt_f32_f16_e32 v71, v70
	v_cvt_f32_f16_sdwa v70, v70 dst_sel:DWORD dst_unused:UNUSED_PAD src0_sel:WORD_1
	v_add_f32_e32 v70, v71, v70
	v_fmac_f32_e32 v22, v70, v40
	v_pk_fma_f16 v70, v58, v6, 0
	v_pk_fma_f16 v6, v62, v6, 0
	;; [unrolled: 1-line block ×8, first 2 shown]
	v_cvt_f32_f16_e32 v71, v70
	v_cvt_f32_f16_e32 v7, v6
	v_cvt_f32_f16_sdwa v6, v6 dst_sel:DWORD dst_unused:UNUSED_PAD src0_sel:WORD_1
	v_cvt_f32_f16_sdwa v70, v70 dst_sel:DWORD dst_unused:UNUSED_PAD src0_sel:WORD_1
	v_add_f32_e32 v6, v7, v6
	v_add_f32_e32 v70, v71, v70
	v_fmac_f32_e32 v20, v6, v42
	v_mov_b32_e32 v6, s21
	s_add_i32 s21, s17, 0x418
	v_fmac_f32_e32 v21, v70, v39
	ds_read2_b32 v[6:7], v6 offset1:1
	s_waitcnt lgkmcnt(0)
	v_pk_fma_f16 v68, v67, v6, 0
	v_pk_fma_f16 v70, v66, v7, v68
	v_mov_b32_e32 v68, s21
	s_add_i32 s21, s17, 0x510
	ds_read2_b32 v[68:69], v68 offset1:1
	s_waitcnt lgkmcnt(0)
	v_pk_fma_f16 v70, v64, v68, v70
	v_pk_fma_f16 v70, v65, v69, v70
	v_cvt_f32_f16_e32 v71, v70
	v_cvt_f32_f16_sdwa v70, v70 dst_sel:DWORD dst_unused:UNUSED_PAD src0_sel:WORD_1
	v_add_f32_e32 v70, v71, v70
	v_fmac_f32_e32 v19, v70, v41
	v_pk_fma_f16 v70, v54, v6, 0
	v_pk_fma_f16 v70, v55, v7, v70
	;; [unrolled: 1-line block ×4, first 2 shown]
	v_cvt_f32_f16_e32 v71, v70
	v_cvt_f32_f16_sdwa v70, v70 dst_sel:DWORD dst_unused:UNUSED_PAD src0_sel:WORD_1
	v_add_f32_e32 v70, v71, v70
	v_fmac_f32_e32 v18, v70, v40
	v_pk_fma_f16 v70, v58, v6, 0
	v_pk_fma_f16 v6, v62, v6, 0
	;; [unrolled: 1-line block ×8, first 2 shown]
	v_cvt_f32_f16_e32 v71, v70
	v_cvt_f32_f16_e32 v7, v6
	v_cvt_f32_f16_sdwa v6, v6 dst_sel:DWORD dst_unused:UNUSED_PAD src0_sel:WORD_1
	v_cvt_f32_f16_sdwa v70, v70 dst_sel:DWORD dst_unused:UNUSED_PAD src0_sel:WORD_1
	v_add_f32_e32 v6, v7, v6
	v_add_f32_e32 v70, v71, v70
	v_fmac_f32_e32 v16, v6, v42
	v_mov_b32_e32 v6, s21
	s_add_i32 s21, s17, 0x518
	v_fmac_f32_e32 v17, v70, v39
	ds_read2_b32 v[6:7], v6 offset1:1
	s_waitcnt lgkmcnt(0)
	v_pk_fma_f16 v68, v67, v6, 0
	v_pk_fma_f16 v70, v66, v7, v68
	v_mov_b32_e32 v68, s21
	s_add_i32 s21, s17, 0x610
	ds_read2_b32 v[68:69], v68 offset1:1
	s_waitcnt lgkmcnt(0)
	v_pk_fma_f16 v70, v64, v68, v70
	v_pk_fma_f16 v70, v65, v69, v70
	v_cvt_f32_f16_e32 v71, v70
	v_cvt_f32_f16_sdwa v70, v70 dst_sel:DWORD dst_unused:UNUSED_PAD src0_sel:WORD_1
	v_add_f32_e32 v70, v71, v70
	v_fmac_f32_e32 v15, v70, v41
	v_pk_fma_f16 v70, v54, v6, 0
	v_pk_fma_f16 v70, v55, v7, v70
	;; [unrolled: 1-line block ×4, first 2 shown]
	v_cvt_f32_f16_e32 v71, v70
	v_cvt_f32_f16_sdwa v70, v70 dst_sel:DWORD dst_unused:UNUSED_PAD src0_sel:WORD_1
	v_add_f32_e32 v70, v71, v70
	v_fmac_f32_e32 v14, v70, v40
	v_pk_fma_f16 v70, v58, v6, 0
	v_pk_fma_f16 v6, v62, v6, 0
	;; [unrolled: 1-line block ×8, first 2 shown]
	v_cvt_f32_f16_e32 v71, v70
	v_cvt_f32_f16_e32 v7, v6
	v_cvt_f32_f16_sdwa v6, v6 dst_sel:DWORD dst_unused:UNUSED_PAD src0_sel:WORD_1
	v_cvt_f32_f16_sdwa v70, v70 dst_sel:DWORD dst_unused:UNUSED_PAD src0_sel:WORD_1
	v_add_f32_e32 v6, v7, v6
	v_add_f32_e32 v70, v71, v70
	v_fmac_f32_e32 v12, v6, v42
	v_mov_b32_e32 v6, s21
	s_add_i32 s21, s17, 0x618
	v_fmac_f32_e32 v13, v70, v39
	ds_read2_b32 v[68:69], v6 offset1:1
	s_waitcnt lgkmcnt(0)
	v_pk_fma_f16 v6, v67, v68, 0
	v_pk_fma_f16 v54, v54, v68, 0
	;; [unrolled: 1-line block ×3, first 2 shown]
	v_mov_b32_e32 v6, s21
	v_pk_fma_f16 v54, v55, v69, v54
	s_add_i32 s21, s17, 0x420
	ds_read2_b32 v[6:7], v6 offset1:1
	s_waitcnt lgkmcnt(0)
	v_pk_fma_f16 v54, v56, v6, v54
	v_pk_fma_f16 v64, v64, v6, v66
	;; [unrolled: 1-line block ×4, first 2 shown]
	v_cvt_f32_f16_e32 v55, v54
	v_cvt_f32_f16_sdwa v54, v54 dst_sel:DWORD dst_unused:UNUSED_PAD src0_sel:WORD_1
	v_cvt_f32_f16_e32 v65, v64
	v_cvt_f32_f16_sdwa v64, v64 dst_sel:DWORD dst_unused:UNUSED_PAD src0_sel:WORD_1
	v_add_f32_e32 v54, v55, v54
	v_add_f32_e32 v64, v65, v64
	v_fmac_f32_e32 v9, v54, v40
	v_pk_fma_f16 v54, v58, v68, 0
	v_fmac_f32_e32 v10, v64, v41
	v_pk_fma_f16 v54, v59, v69, v54
	v_pk_fma_f16 v54, v60, v6, v54
	;; [unrolled: 1-line block ×3, first 2 shown]
	v_cvt_f32_f16_e32 v55, v54
	v_cvt_f32_f16_sdwa v54, v54 dst_sel:DWORD dst_unused:UNUSED_PAD src0_sel:WORD_1
	v_add_f32_e32 v54, v55, v54
	v_fmac_f32_e32 v8, v54, v39
	v_pk_fma_f16 v54, v62, v68, 0
	global_load_dwordx4 v[59:62], v[4:5], off
	v_add_co_u32 v4, vcc_lo, v4, s4
	v_add_co_ci_u32_e64 v5, null, s5, v5, vcc_lo
	v_pk_fma_f16 v54, v63, v69, v54
	v_add_co_u32 v2, vcc_lo, v2, s2
	v_add_co_ci_u32_e64 v3, null, s3, v3, vcc_lo
	v_pk_fma_f16 v6, v53, v6, v54
	v_pk_fma_f16 v6, v52, v7, v6
	v_cvt_f32_f16_e32 v7, v6
	v_cvt_f32_f16_sdwa v6, v6 dst_sel:DWORD dst_unused:UNUSED_PAD src0_sel:WORD_1
	v_add_f32_e32 v6, v7, v6
	v_fmac_f32_e32 v11, v6, v42
	s_waitcnt vmcnt(0)
	v_lshrrev_b32_e32 v52, 8, v59
	v_and_or_b32 v6, v59, s1, 0x64006400
	v_and_or_b32 v7, v59, s9, 0x64006400
	v_lshrrev_b32_e32 v56, 8, v60
	v_and_or_b32 v59, v61, s9, 0x64006400
	v_and_or_b32 v54, v52, s1, 0x64006400
	v_and_or_b32 v55, v52, s9, 0x64006400
	v_pk_add_f16 v53, v43, v6
	v_pk_fma_f16 v52, 0x2c00, v7, v47 op_sel_hi:[0,1,1]
	v_and_or_b32 v57, v56, s1, 0x64006400
	v_pk_add_f16 v6, v43, v54
	v_pk_fma_f16 v7, 0x2c00, v55, v47 op_sel_hi:[0,1,1]
	v_and_or_b32 v54, v60, s1, 0x64006400
	v_and_or_b32 v55, v60, s9, 0x64006400
	;; [unrolled: 1-line block ×3, first 2 shown]
	v_lshrrev_b32_e32 v60, 8, v61
	v_pk_add_f16 v56, v46, v57
	v_and_or_b32 v64, v62, s9, 0x64006400
	v_pk_add_f16 v54, v46, v54
	v_pk_fma_f16 v57, 0x2c00, v58, v50 op_sel_hi:[0,1,1]
	v_and_or_b32 v58, v61, s1, 0x64006400
	v_and_or_b32 v61, v60, s1, 0x64006400
	;; [unrolled: 1-line block ×3, first 2 shown]
	v_pk_fma_f16 v67, 0x2c00, v64, v48 op_sel_hi:[0,1,1]
	v_pk_fma_f16 v55, 0x2c00, v55, v50 op_sel_hi:[0,1,1]
	v_pk_add_f16 v58, v45, v58
	v_pk_add_f16 v60, v45, v61
	v_pk_fma_f16 v61, 0x2c00, v63, v49 op_sel_hi:[0,1,1]
	v_and_or_b32 v63, v62, s1, 0x64006400
	v_lshrrev_b32_e32 v62, 8, v62
	v_pk_fma_f16 v59, 0x2c00, v59, v49 op_sel_hi:[0,1,1]
	v_pk_add_f16 v66, v44, v63
	v_and_or_b32 v65, v62, s1, 0x64006400
	v_and_or_b32 v62, v62, s9, 0x64006400
	v_pk_add_f16 v68, v44, v65
	v_pk_fma_f16 v69, 0x2c00, v62, v48 op_sel_hi:[0,1,1]
	ds_read2_b32 v[62:63], v51 offset0:8 offset1:9
	s_waitcnt lgkmcnt(0)
	v_pk_fma_f16 v64, v53, v62, 0
	v_pk_fma_f16 v70, v52, v63, v64
	ds_read2_b32 v[64:65], v51 offset0:10 offset1:11
	s_waitcnt lgkmcnt(0)
	v_pk_fma_f16 v70, v6, v64, v70
	v_pk_fma_f16 v70, v7, v65, v70
	v_cvt_f32_f16_e32 v71, v70
	v_cvt_f32_f16_sdwa v70, v70 dst_sel:DWORD dst_unused:UNUSED_PAD src0_sel:WORD_1
	v_add_f32_e32 v70, v71, v70
	v_fmac_f32_e32 v35, v70, v41
	v_pk_fma_f16 v70, v54, v62, 0
	v_pk_fma_f16 v70, v55, v63, v70
	v_pk_fma_f16 v70, v56, v64, v70
	v_pk_fma_f16 v70, v57, v65, v70
	v_cvt_f32_f16_e32 v71, v70
	v_cvt_f32_f16_sdwa v70, v70 dst_sel:DWORD dst_unused:UNUSED_PAD src0_sel:WORD_1
	v_add_f32_e32 v70, v71, v70
	v_fmac_f32_e32 v36, v70, v40
	v_pk_fma_f16 v70, v58, v62, 0
	v_pk_fma_f16 v62, v66, v62, 0
	v_pk_fma_f16 v70, v59, v63, v70
	v_pk_fma_f16 v62, v67, v63, v62
	v_pk_fma_f16 v70, v60, v64, v70
	v_pk_fma_f16 v62, v68, v64, v62
	v_pk_fma_f16 v70, v61, v65, v70
	v_pk_fma_f16 v62, v69, v65, v62
	v_cvt_f32_f16_e32 v71, v70
	v_cvt_f32_f16_e32 v63, v62
	v_cvt_f32_f16_sdwa v62, v62 dst_sel:DWORD dst_unused:UNUSED_PAD src0_sel:WORD_1
	v_cvt_f32_f16_sdwa v70, v70 dst_sel:DWORD dst_unused:UNUSED_PAD src0_sel:WORD_1
	v_add_f32_e32 v62, v63, v62
	v_add_f32_e32 v70, v71, v70
	v_fmac_f32_e32 v32, v62, v42
	ds_read2_b32 v[62:63], v51 offset0:72 offset1:73
	v_fmac_f32_e32 v34, v70, v39
	s_waitcnt lgkmcnt(0)
	v_pk_fma_f16 v64, v53, v62, 0
	v_pk_fma_f16 v70, v52, v63, v64
	ds_read2_b32 v[64:65], v51 offset0:74 offset1:75
	s_waitcnt lgkmcnt(0)
	v_pk_fma_f16 v70, v6, v64, v70
	v_pk_fma_f16 v70, v7, v65, v70
	v_cvt_f32_f16_e32 v71, v70
	v_cvt_f32_f16_sdwa v70, v70 dst_sel:DWORD dst_unused:UNUSED_PAD src0_sel:WORD_1
	v_add_f32_e32 v70, v71, v70
	v_fmac_f32_e32 v31, v70, v41
	v_pk_fma_f16 v70, v54, v62, 0
	v_pk_fma_f16 v70, v55, v63, v70
	v_pk_fma_f16 v70, v56, v64, v70
	v_pk_fma_f16 v70, v57, v65, v70
	v_cvt_f32_f16_e32 v71, v70
	v_cvt_f32_f16_sdwa v70, v70 dst_sel:DWORD dst_unused:UNUSED_PAD src0_sel:WORD_1
	v_add_f32_e32 v70, v71, v70
	v_fmac_f32_e32 v30, v70, v40
	v_pk_fma_f16 v70, v58, v62, 0
	v_pk_fma_f16 v62, v66, v62, 0
	v_pk_fma_f16 v70, v59, v63, v70
	v_pk_fma_f16 v62, v67, v63, v62
	v_pk_fma_f16 v70, v60, v64, v70
	v_pk_fma_f16 v62, v68, v64, v62
	v_pk_fma_f16 v70, v61, v65, v70
	v_pk_fma_f16 v62, v69, v65, v62
	v_cvt_f32_f16_e32 v71, v70
	v_cvt_f32_f16_e32 v63, v62
	v_cvt_f32_f16_sdwa v62, v62 dst_sel:DWORD dst_unused:UNUSED_PAD src0_sel:WORD_1
	v_cvt_f32_f16_sdwa v70, v70 dst_sel:DWORD dst_unused:UNUSED_PAD src0_sel:WORD_1
	v_add_f32_e32 v62, v63, v62
	v_add_f32_e32 v70, v71, v70
	v_fmac_f32_e32 v28, v62, v42
	ds_read2_b32 v[62:63], v51 offset0:136 offset1:137
	v_fmac_f32_e32 v29, v70, v39
	;; [unrolled: 36-line block ×3, first 2 shown]
	s_waitcnt lgkmcnt(0)
	v_pk_fma_f16 v64, v53, v62, 0
	v_pk_fma_f16 v70, v52, v63, v64
	ds_read2_b32 v[64:65], v51 offset0:202 offset1:203
	s_waitcnt lgkmcnt(0)
	v_pk_fma_f16 v70, v6, v64, v70
	v_pk_fma_f16 v70, v7, v65, v70
	v_cvt_f32_f16_e32 v71, v70
	v_cvt_f32_f16_sdwa v70, v70 dst_sel:DWORD dst_unused:UNUSED_PAD src0_sel:WORD_1
	v_add_f32_e32 v70, v71, v70
	v_fmac_f32_e32 v23, v70, v41
	v_pk_fma_f16 v70, v54, v62, 0
	v_pk_fma_f16 v70, v55, v63, v70
	v_pk_fma_f16 v70, v56, v64, v70
	v_pk_fma_f16 v70, v57, v65, v70
	v_cvt_f32_f16_e32 v71, v70
	v_cvt_f32_f16_sdwa v70, v70 dst_sel:DWORD dst_unused:UNUSED_PAD src0_sel:WORD_1
	v_add_f32_e32 v70, v71, v70
	v_fmac_f32_e32 v22, v70, v40
	v_pk_fma_f16 v70, v58, v62, 0
	v_pk_fma_f16 v62, v66, v62, 0
	v_pk_fma_f16 v70, v59, v63, v70
	v_pk_fma_f16 v62, v67, v63, v62
	v_pk_fma_f16 v70, v60, v64, v70
	v_pk_fma_f16 v62, v68, v64, v62
	v_pk_fma_f16 v70, v61, v65, v70
	v_pk_fma_f16 v62, v69, v65, v62
	v_cvt_f32_f16_e32 v71, v70
	v_cvt_f32_f16_e32 v63, v62
	v_cvt_f32_f16_sdwa v62, v62 dst_sel:DWORD dst_unused:UNUSED_PAD src0_sel:WORD_1
	v_cvt_f32_f16_sdwa v70, v70 dst_sel:DWORD dst_unused:UNUSED_PAD src0_sel:WORD_1
	v_add_f32_e32 v62, v63, v62
	v_add_f32_e32 v70, v71, v70
	v_fmac_f32_e32 v20, v62, v42
	v_mov_b32_e32 v62, s21
	s_add_i32 s21, s17, 0x428
	v_fmac_f32_e32 v21, v70, v39
	ds_read2_b32 v[62:63], v62 offset1:1
	s_waitcnt lgkmcnt(0)
	v_pk_fma_f16 v64, v53, v62, 0
	v_pk_fma_f16 v70, v52, v63, v64
	v_mov_b32_e32 v64, s21
	s_add_i32 s21, s17, 0x520
	ds_read2_b32 v[64:65], v64 offset1:1
	s_waitcnt lgkmcnt(0)
	v_pk_fma_f16 v70, v6, v64, v70
	v_pk_fma_f16 v70, v7, v65, v70
	v_cvt_f32_f16_e32 v71, v70
	v_cvt_f32_f16_sdwa v70, v70 dst_sel:DWORD dst_unused:UNUSED_PAD src0_sel:WORD_1
	v_add_f32_e32 v70, v71, v70
	v_fmac_f32_e32 v19, v70, v41
	v_pk_fma_f16 v70, v54, v62, 0
	v_pk_fma_f16 v70, v55, v63, v70
	v_pk_fma_f16 v70, v56, v64, v70
	v_pk_fma_f16 v70, v57, v65, v70
	v_cvt_f32_f16_e32 v71, v70
	v_cvt_f32_f16_sdwa v70, v70 dst_sel:DWORD dst_unused:UNUSED_PAD src0_sel:WORD_1
	v_add_f32_e32 v70, v71, v70
	v_fmac_f32_e32 v18, v70, v40
	v_pk_fma_f16 v70, v58, v62, 0
	v_pk_fma_f16 v62, v66, v62, 0
	v_pk_fma_f16 v70, v59, v63, v70
	v_pk_fma_f16 v62, v67, v63, v62
	v_pk_fma_f16 v70, v60, v64, v70
	v_pk_fma_f16 v62, v68, v64, v62
	v_pk_fma_f16 v70, v61, v65, v70
	v_pk_fma_f16 v62, v69, v65, v62
	v_cvt_f32_f16_e32 v71, v70
	v_cvt_f32_f16_e32 v63, v62
	v_cvt_f32_f16_sdwa v62, v62 dst_sel:DWORD dst_unused:UNUSED_PAD src0_sel:WORD_1
	v_cvt_f32_f16_sdwa v70, v70 dst_sel:DWORD dst_unused:UNUSED_PAD src0_sel:WORD_1
	v_add_f32_e32 v62, v63, v62
	v_add_f32_e32 v70, v71, v70
	v_fmac_f32_e32 v16, v62, v42
	v_mov_b32_e32 v62, s21
	s_add_i32 s21, s17, 0x528
	v_fmac_f32_e32 v17, v70, v39
	ds_read2_b32 v[62:63], v62 offset1:1
	s_waitcnt lgkmcnt(0)
	v_pk_fma_f16 v64, v53, v62, 0
	v_pk_fma_f16 v70, v52, v63, v64
	v_mov_b32_e32 v64, s21
	s_add_i32 s21, s17, 0x620
	ds_read2_b32 v[64:65], v64 offset1:1
	;; [unrolled: 40-line block ×3, first 2 shown]
	s_waitcnt lgkmcnt(0)
	v_pk_fma_f16 v6, v6, v52, v64
	v_pk_fma_f16 v6, v7, v53, v6
	v_cvt_f32_f16_e32 v7, v6
	v_cvt_f32_f16_sdwa v6, v6 dst_sel:DWORD dst_unused:UNUSED_PAD src0_sel:WORD_1
	v_add_f32_e32 v6, v7, v6
	v_fmac_f32_e32 v10, v6, v41
	v_pk_fma_f16 v6, v54, v62, 0
	v_pk_fma_f16 v6, v55, v63, v6
	v_pk_fma_f16 v6, v56, v52, v6
	v_pk_fma_f16 v6, v57, v53, v6
	v_cvt_f32_f16_e32 v7, v6
	v_cvt_f32_f16_sdwa v6, v6 dst_sel:DWORD dst_unused:UNUSED_PAD src0_sel:WORD_1
	v_add_f32_e32 v6, v7, v6
	v_fmac_f32_e32 v9, v6, v40
	v_pk_fma_f16 v6, v58, v62, 0
	v_pk_fma_f16 v6, v59, v63, v6
	;; [unrolled: 8-line block ×3, first 2 shown]
	v_pk_fma_f16 v6, v68, v52, v6
	v_pk_fma_f16 v6, v69, v53, v6
	v_cvt_f32_f16_e32 v7, v6
	v_cvt_f32_f16_sdwa v6, v6 dst_sel:DWORD dst_unused:UNUSED_PAD src0_sel:WORD_1
	v_add_f32_e32 v6, v7, v6
	v_fmac_f32_e32 v11, v6, v42
	global_load_dwordx4 v[4:7], v[4:5], off
	s_waitcnt vmcnt(0)
	v_and_or_b32 v52, v4, s1, 0x64006400
	v_and_or_b32 v53, v4, s9, 0x64006400
	v_lshrrev_b32_e32 v4, 8, v4
	v_pk_add_f16 v67, v43, v52
	v_and_or_b32 v52, v5, s9, 0x64006400
	v_and_or_b32 v54, v4, s1, 0x64006400
	;; [unrolled: 1-line block ×3, first 2 shown]
	v_pk_fma_f16 v66, 0x2c00, v53, v47 op_sel_hi:[0,1,1]
	v_pk_fma_f16 v61, 0x2c00, v52, v50 op_sel_hi:[0,1,1]
	v_pk_add_f16 v64, v43, v54
	v_pk_fma_f16 v65, 0x2c00, v4, v47 op_sel_hi:[0,1,1]
	v_and_or_b32 v4, v5, s1, 0x64006400
	v_lshrrev_b32_e32 v5, 8, v5
	v_pk_add_f16 v60, v46, v4
	v_and_or_b32 v53, v5, s1, 0x64006400
	v_and_or_b32 v5, v5, s9, 0x64006400
	;; [unrolled: 1-line block ×3, first 2 shown]
	v_pk_add_f16 v62, v46, v53
	v_pk_fma_f16 v63, 0x2c00, v5, v50 op_sel_hi:[0,1,1]
	v_and_or_b32 v5, v6, s9, 0x64006400
	v_pk_add_f16 v56, v45, v4
	v_and_or_b32 v4, v7, s1, 0x64006400
	v_lshrrev_b32_e32 v6, 8, v6
	v_pk_fma_f16 v57, 0x2c00, v5, v49 op_sel_hi:[0,1,1]
	v_and_or_b32 v5, v7, s9, 0x64006400
	v_pk_add_f16 v55, v44, v4
	v_and_or_b32 v52, v6, s1, 0x64006400
	v_and_or_b32 v6, v6, s9, 0x64006400
	v_pk_fma_f16 v54, 0x2c00, v5, v48 op_sel_hi:[0,1,1]
	ds_read2_b32 v[4:5], v51 offset0:12 offset1:13
	v_pk_add_f16 v58, v45, v52
	v_pk_fma_f16 v59, 0x2c00, v6, v49 op_sel_hi:[0,1,1]
	v_lshrrev_b32_e32 v6, 8, v7
	v_and_or_b32 v7, v6, s1, 0x64006400
	v_and_or_b32 v6, v6, s9, 0x64006400
	v_pk_add_f16 v53, v44, v7
	v_pk_fma_f16 v52, 0x2c00, v6, v48 op_sel_hi:[0,1,1]
	s_waitcnt lgkmcnt(0)
	v_pk_fma_f16 v6, v67, v4, 0
	v_pk_fma_f16 v68, v66, v5, v6
	ds_read2_b32 v[6:7], v51 offset0:14 offset1:15
	s_waitcnt lgkmcnt(0)
	v_pk_fma_f16 v68, v64, v6, v68
	v_pk_fma_f16 v68, v65, v7, v68
	v_cvt_f32_f16_e32 v69, v68
	v_cvt_f32_f16_sdwa v68, v68 dst_sel:DWORD dst_unused:UNUSED_PAD src0_sel:WORD_1
	v_add_f32_e32 v68, v69, v68
	v_fmac_f32_e32 v35, v68, v41
	v_pk_fma_f16 v68, v60, v4, 0
	v_pk_fma_f16 v68, v61, v5, v68
	v_pk_fma_f16 v68, v62, v6, v68
	v_pk_fma_f16 v68, v63, v7, v68
	v_cvt_f32_f16_e32 v69, v68
	v_cvt_f32_f16_sdwa v68, v68 dst_sel:DWORD dst_unused:UNUSED_PAD src0_sel:WORD_1
	v_add_f32_e32 v68, v69, v68
	v_fmac_f32_e32 v36, v68, v40
	v_pk_fma_f16 v68, v56, v4, 0
	v_pk_fma_f16 v4, v55, v4, 0
	v_pk_fma_f16 v68, v57, v5, v68
	v_pk_fma_f16 v4, v54, v5, v4
	v_pk_fma_f16 v68, v58, v6, v68
	v_pk_fma_f16 v4, v53, v6, v4
	v_pk_fma_f16 v68, v59, v7, v68
	v_pk_fma_f16 v4, v52, v7, v4
	v_cvt_f32_f16_e32 v69, v68
	v_cvt_f32_f16_e32 v5, v4
	v_cvt_f32_f16_sdwa v4, v4 dst_sel:DWORD dst_unused:UNUSED_PAD src0_sel:WORD_1
	v_cvt_f32_f16_sdwa v68, v68 dst_sel:DWORD dst_unused:UNUSED_PAD src0_sel:WORD_1
	v_add_f32_e32 v4, v5, v4
	v_add_f32_e32 v68, v69, v68
	v_fmac_f32_e32 v32, v4, v42
	ds_read2_b32 v[4:5], v51 offset0:76 offset1:77
	v_fmac_f32_e32 v34, v68, v39
	s_waitcnt lgkmcnt(0)
	v_pk_fma_f16 v6, v67, v4, 0
	v_pk_fma_f16 v68, v66, v5, v6
	ds_read2_b32 v[6:7], v51 offset0:78 offset1:79
	s_waitcnt lgkmcnt(0)
	v_pk_fma_f16 v68, v64, v6, v68
	v_pk_fma_f16 v68, v65, v7, v68
	v_cvt_f32_f16_e32 v69, v68
	v_cvt_f32_f16_sdwa v68, v68 dst_sel:DWORD dst_unused:UNUSED_PAD src0_sel:WORD_1
	v_add_f32_e32 v68, v69, v68
	v_fmac_f32_e32 v31, v68, v41
	v_pk_fma_f16 v68, v60, v4, 0
	v_pk_fma_f16 v68, v61, v5, v68
	v_pk_fma_f16 v68, v62, v6, v68
	v_pk_fma_f16 v68, v63, v7, v68
	v_cvt_f32_f16_e32 v69, v68
	v_cvt_f32_f16_sdwa v68, v68 dst_sel:DWORD dst_unused:UNUSED_PAD src0_sel:WORD_1
	v_add_f32_e32 v68, v69, v68
	v_fmac_f32_e32 v30, v68, v40
	v_pk_fma_f16 v68, v56, v4, 0
	v_pk_fma_f16 v4, v55, v4, 0
	v_pk_fma_f16 v68, v57, v5, v68
	v_pk_fma_f16 v4, v54, v5, v4
	v_pk_fma_f16 v68, v58, v6, v68
	v_pk_fma_f16 v4, v53, v6, v4
	v_pk_fma_f16 v68, v59, v7, v68
	v_pk_fma_f16 v4, v52, v7, v4
	v_cvt_f32_f16_e32 v69, v68
	v_cvt_f32_f16_e32 v5, v4
	v_cvt_f32_f16_sdwa v4, v4 dst_sel:DWORD dst_unused:UNUSED_PAD src0_sel:WORD_1
	v_cvt_f32_f16_sdwa v68, v68 dst_sel:DWORD dst_unused:UNUSED_PAD src0_sel:WORD_1
	v_add_f32_e32 v4, v5, v4
	v_add_f32_e32 v68, v69, v68
	v_fmac_f32_e32 v28, v4, v42
	ds_read2_b32 v[4:5], v51 offset0:140 offset1:141
	v_fmac_f32_e32 v29, v68, v39
	;; [unrolled: 36-line block ×3, first 2 shown]
	s_waitcnt lgkmcnt(0)
	v_pk_fma_f16 v6, v67, v4, 0
	v_pk_fma_f16 v68, v66, v5, v6
	ds_read2_b32 v[6:7], v51 offset0:206 offset1:207
	s_waitcnt lgkmcnt(0)
	v_pk_fma_f16 v51, v64, v6, v68
	v_pk_fma_f16 v51, v65, v7, v51
	v_cvt_f32_f16_e32 v68, v51
	v_cvt_f32_f16_sdwa v51, v51 dst_sel:DWORD dst_unused:UNUSED_PAD src0_sel:WORD_1
	v_add_f32_e32 v51, v68, v51
	v_fmac_f32_e32 v23, v51, v41
	v_pk_fma_f16 v51, v60, v4, 0
	v_pk_fma_f16 v51, v61, v5, v51
	;; [unrolled: 1-line block ×4, first 2 shown]
	v_cvt_f32_f16_e32 v68, v51
	v_cvt_f32_f16_sdwa v51, v51 dst_sel:DWORD dst_unused:UNUSED_PAD src0_sel:WORD_1
	v_add_f32_e32 v51, v68, v51
	v_fmac_f32_e32 v22, v51, v40
	v_pk_fma_f16 v51, v56, v4, 0
	v_pk_fma_f16 v4, v55, v4, 0
	;; [unrolled: 1-line block ×8, first 2 shown]
	v_cvt_f32_f16_e32 v68, v51
	v_cvt_f32_f16_e32 v5, v4
	v_cvt_f32_f16_sdwa v4, v4 dst_sel:DWORD dst_unused:UNUSED_PAD src0_sel:WORD_1
	v_cvt_f32_f16_sdwa v51, v51 dst_sel:DWORD dst_unused:UNUSED_PAD src0_sel:WORD_1
	v_add_f32_e32 v4, v5, v4
	v_add_f32_e32 v51, v68, v51
	v_fmac_f32_e32 v20, v4, v42
	v_mov_b32_e32 v4, s21
	s_add_i32 s21, s17, 0x438
	v_fmac_f32_e32 v21, v51, v39
	ds_read2_b32 v[4:5], v4 offset1:1
	s_waitcnt lgkmcnt(0)
	v_pk_fma_f16 v6, v67, v4, 0
	v_pk_fma_f16 v51, v66, v5, v6
	v_mov_b32_e32 v6, s21
	s_add_i32 s21, s17, 0x530
	ds_read2_b32 v[6:7], v6 offset1:1
	s_waitcnt lgkmcnt(0)
	v_pk_fma_f16 v51, v64, v6, v51
	v_pk_fma_f16 v51, v65, v7, v51
	v_cvt_f32_f16_e32 v68, v51
	v_cvt_f32_f16_sdwa v51, v51 dst_sel:DWORD dst_unused:UNUSED_PAD src0_sel:WORD_1
	v_add_f32_e32 v51, v68, v51
	v_fmac_f32_e32 v19, v51, v41
	v_pk_fma_f16 v51, v60, v4, 0
	v_pk_fma_f16 v51, v61, v5, v51
	;; [unrolled: 1-line block ×4, first 2 shown]
	v_cvt_f32_f16_e32 v68, v51
	v_cvt_f32_f16_sdwa v51, v51 dst_sel:DWORD dst_unused:UNUSED_PAD src0_sel:WORD_1
	v_add_f32_e32 v51, v68, v51
	v_fmac_f32_e32 v18, v51, v40
	v_pk_fma_f16 v51, v56, v4, 0
	v_pk_fma_f16 v4, v55, v4, 0
	;; [unrolled: 1-line block ×8, first 2 shown]
	v_cvt_f32_f16_e32 v68, v51
	v_cvt_f32_f16_e32 v5, v4
	v_cvt_f32_f16_sdwa v4, v4 dst_sel:DWORD dst_unused:UNUSED_PAD src0_sel:WORD_1
	v_cvt_f32_f16_sdwa v51, v51 dst_sel:DWORD dst_unused:UNUSED_PAD src0_sel:WORD_1
	v_add_f32_e32 v4, v5, v4
	v_add_f32_e32 v51, v68, v51
	v_fmac_f32_e32 v16, v4, v42
	v_mov_b32_e32 v4, s21
	s_add_i32 s21, s17, 0x538
	v_fmac_f32_e32 v17, v51, v39
	ds_read2_b32 v[4:5], v4 offset1:1
	s_waitcnt lgkmcnt(0)
	v_pk_fma_f16 v6, v67, v4, 0
	v_pk_fma_f16 v51, v66, v5, v6
	v_mov_b32_e32 v6, s21
	s_add_i32 s21, s17, 0x630
	ds_read2_b32 v[6:7], v6 offset1:1
	s_waitcnt lgkmcnt(0)
	v_pk_fma_f16 v51, v64, v6, v51
	v_pk_fma_f16 v51, v65, v7, v51
	v_cvt_f32_f16_e32 v68, v51
	v_cvt_f32_f16_sdwa v51, v51 dst_sel:DWORD dst_unused:UNUSED_PAD src0_sel:WORD_1
	v_add_f32_e32 v51, v68, v51
	v_fmac_f32_e32 v15, v51, v41
	v_pk_fma_f16 v51, v60, v4, 0
	v_pk_fma_f16 v51, v61, v5, v51
	;; [unrolled: 1-line block ×4, first 2 shown]
	v_cvt_f32_f16_e32 v68, v51
	v_cvt_f32_f16_sdwa v51, v51 dst_sel:DWORD dst_unused:UNUSED_PAD src0_sel:WORD_1
	v_add_f32_e32 v51, v68, v51
	v_fmac_f32_e32 v14, v51, v40
	v_pk_fma_f16 v51, v56, v4, 0
	v_pk_fma_f16 v4, v55, v4, 0
	;; [unrolled: 1-line block ×8, first 2 shown]
	v_cvt_f32_f16_e32 v68, v51
	v_cvt_f32_f16_e32 v5, v4
	v_cvt_f32_f16_sdwa v4, v4 dst_sel:DWORD dst_unused:UNUSED_PAD src0_sel:WORD_1
	v_cvt_f32_f16_sdwa v51, v51 dst_sel:DWORD dst_unused:UNUSED_PAD src0_sel:WORD_1
	v_add_f32_e32 v4, v5, v4
	v_add_f32_e32 v51, v68, v51
	v_fmac_f32_e32 v12, v4, v42
	v_mov_b32_e32 v4, s21
	s_add_i32 s21, s17, 0x638
	v_fmac_f32_e32 v13, v51, v39
	s_add_i32 s17, s17, 64
	s_cmp_ge_i32 s18, s19
	ds_read2_b32 v[6:7], v4 offset1:1
	s_waitcnt lgkmcnt(0)
	v_pk_fma_f16 v4, v67, v6, 0
	v_pk_fma_f16 v51, v66, v7, v4
	v_mov_b32_e32 v4, s21
	ds_read2_b32 v[4:5], v4 offset1:1
	s_waitcnt lgkmcnt(0)
	v_pk_fma_f16 v51, v64, v4, v51
	v_pk_fma_f16 v51, v65, v5, v51
	v_cvt_f32_f16_e32 v64, v51
	v_cvt_f32_f16_sdwa v51, v51 dst_sel:DWORD dst_unused:UNUSED_PAD src0_sel:WORD_1
	v_add_f32_e32 v51, v64, v51
	v_fmac_f32_e32 v10, v51, v41
	v_pk_fma_f16 v51, v60, v6, 0
	v_pk_fma_f16 v51, v61, v7, v51
	;; [unrolled: 1-line block ×4, first 2 shown]
	v_cvt_f32_f16_e32 v60, v51
	v_cvt_f32_f16_sdwa v51, v51 dst_sel:DWORD dst_unused:UNUSED_PAD src0_sel:WORD_1
	v_add_f32_e32 v51, v60, v51
	v_fmac_f32_e32 v9, v51, v40
	v_pk_fma_f16 v51, v56, v6, 0
	v_pk_fma_f16 v6, v55, v6, 0
	;; [unrolled: 1-line block ×8, first 2 shown]
	v_cvt_f32_f16_e32 v56, v51
	v_cvt_f32_f16_sdwa v51, v51 dst_sel:DWORD dst_unused:UNUSED_PAD src0_sel:WORD_1
	v_cvt_f32_f16_e32 v5, v4
	v_cvt_f32_f16_sdwa v4, v4 dst_sel:DWORD dst_unused:UNUSED_PAD src0_sel:WORD_1
	v_add_f32_e32 v51, v56, v51
	v_add_f32_e32 v4, v5, v4
	v_fmac_f32_e32 v8, v51, v39
	v_fmac_f32_e32 v11, v4, v42
	s_cbranch_scc1 .LBB41_22
.LBB41_20:                              ; =>This Inner Loop Header: Depth=1
	s_cmp_lg_u32 s18, s8
	s_cbranch_scc1 .LBB41_19
; %bb.21:                               ;   in Loop: Header=BB41_20 Depth=1
	s_add_i32 s16, s16, 1
	s_add_i32 s8, s8, s6
	s_mul_i32 s21, s16, s0
	s_ashr_i32 s22, s21, 31
	v_add_nc_u32_e32 v6, s21, v1
	s_lshr_b32 s22, s22, 29
	s_add_i32 s22, s21, s22
	v_ashrrev_i32_e32 v7, 31, v6
	s_ashr_i32 s22, s22, 3
	v_add_nc_u32_e32 v4, s22, v33
	v_lshlrev_b64 v[6:7], 1, v[6:7]
	v_ashrrev_i32_e32 v5, 31, v4
	v_lshlrev_b64 v[4:5], 2, v[4:5]
	v_add_co_u32 v4, vcc_lo, s10, v4
	v_add_co_ci_u32_e64 v5, null, s11, v5, vcc_lo
	v_add_co_u32 v6, vcc_lo, s12, v6
	v_add_co_ci_u32_e64 v7, null, s13, v7, vcc_lo
	global_load_dword v39, v[4:5], off
	global_load_dwordx2 v[4:5], v[6:7], off
	s_waitcnt vmcnt(1)
	v_lshrrev_b32_e32 v6, v37, v39
	s_waitcnt vmcnt(0)
	v_cvt_f32_f16_e32 v41, v4
	v_cvt_f32_f16_sdwa v40, v4 dst_sel:DWORD dst_unused:UNUSED_PAD src0_sel:WORD_1
	v_bfe_u32 v4, v39, v37, 4
	v_cvt_f32_f16_e32 v39, v5
	v_bfe_u32 v7, v6, 4, 4
	v_bfe_u32 v43, v6, 8, 4
	v_bfe_u32 v6, v6, 12, 4
	v_add_nc_u32_e32 v4, v4, v38
	v_cvt_f32_f16_sdwa v42, v5 dst_sel:DWORD dst_unused:UNUSED_PAD src0_sel:WORD_1
	v_add_nc_u32_e32 v5, v7, v38
	v_add_nc_u32_e32 v7, v43, v38
	;; [unrolled: 1-line block ×3, first 2 shown]
	v_cvt_f32_ubyte0_e32 v44, v4
	v_mad_u32_u24 v43, 0x10001, v4, s20
	v_cvt_f32_ubyte0_e32 v4, v5
	v_cvt_f32_ubyte0_e32 v45, v7
	;; [unrolled: 1-line block ×3, first 2 shown]
	v_cvt_f16_f32_e32 v44, v44
	v_mad_u32_u24 v46, 0x10001, v5, s20
	v_cvt_f16_f32_e32 v4, v4
	v_cvt_f16_f32_e32 v5, v45
	;; [unrolled: 1-line block ×3, first 2 shown]
	v_mad_u32_u24 v45, 0x10001, v7, s20
	v_sub_f16_e32 v7, 0xd400, v44
	v_sub_f16_e32 v4, 0xd400, v4
	;; [unrolled: 1-line block ×4, first 2 shown]
	v_mad_u32_u24 v44, 0x10001, v6, s20
	v_mul_u32_u24_sdwa v47, v7, v0 dst_sel:DWORD dst_unused:UNUSED_PAD src0_sel:WORD_0 src1_sel:DWORD
	v_mul_u32_u24_sdwa v50, v4, v0 dst_sel:DWORD dst_unused:UNUSED_PAD src0_sel:WORD_0 src1_sel:DWORD
	;; [unrolled: 1-line block ×4, first 2 shown]
	s_branch .LBB41_19
.LBB41_22:
	v_mad_u64_u32 v[0:1], null, s7, s0, v[1:2]
	v_cvt_f16_f32_e32 v3, v35
	v_cvt_f16_f32_e32 v5, v36
	s_mov_b32 s1, 0
	v_pack_b32_f16 v5, v3, v5
	v_ashrrev_i32_e32 v1, 31, v0
	v_lshlrev_b64 v[1:2], 1, v[0:1]
	v_add_co_u32 v1, vcc_lo, s14, v1
	v_add_co_ci_u32_e64 v2, null, s15, v2, vcc_lo
	global_load_dword v4, v[1:2], off
.LBB41_23:                              ; =>This Inner Loop Header: Depth=1
	s_waitcnt vmcnt(0)
	v_pk_add_f16 v3, v5, v4
	global_atomic_cmpswap v3, v[1:2], v[3:4], off glc
	s_waitcnt vmcnt(0)
	v_cmp_eq_u32_e32 vcc_lo, v4, v3
	v_mov_b32_e32 v4, v3
	s_or_b32 s1, vcc_lo, s1
	s_andn2_b32 exec_lo, exec_lo, s1
	s_cbranch_execnz .LBB41_23
; %bb.24:
	s_or_b32 exec_lo, exec_lo, s1
	global_load_dword v4, v[1:2], off offset:4
	v_cvt_f16_f32_e32 v3, v34
	v_cvt_f16_f32_e32 v5, v32
	s_mov_b32 s1, 0
	v_pack_b32_f16 v5, v3, v5
.LBB41_25:                              ; =>This Inner Loop Header: Depth=1
	s_waitcnt vmcnt(0)
	v_pk_add_f16 v3, v5, v4
	global_atomic_cmpswap v3, v[1:2], v[3:4], off offset:4 glc
	s_waitcnt vmcnt(0)
	v_cmp_eq_u32_e32 vcc_lo, v4, v3
	v_mov_b32_e32 v4, v3
	s_or_b32 s1, vcc_lo, s1
	s_andn2_b32 exec_lo, exec_lo, s1
	s_cbranch_execnz .LBB41_25
; %bb.26:
	s_or_b32 exec_lo, exec_lo, s1
	v_add_nc_u32_e32 v0, s0, v0
	v_cvt_f16_f32_e32 v3, v31
	v_cvt_f16_f32_e32 v5, v30
	s_mov_b32 s1, 0
	v_ashrrev_i32_e32 v1, 31, v0
	v_pack_b32_f16 v5, v3, v5
	v_lshlrev_b64 v[1:2], 1, v[0:1]
	v_add_co_u32 v1, vcc_lo, s14, v1
	v_add_co_ci_u32_e64 v2, null, s15, v2, vcc_lo
	global_load_dword v4, v[1:2], off
.LBB41_27:                              ; =>This Inner Loop Header: Depth=1
	s_waitcnt vmcnt(0)
	v_pk_add_f16 v3, v5, v4
	global_atomic_cmpswap v3, v[1:2], v[3:4], off glc
	s_waitcnt vmcnt(0)
	v_cmp_eq_u32_e32 vcc_lo, v4, v3
	v_mov_b32_e32 v4, v3
	s_or_b32 s1, vcc_lo, s1
	s_andn2_b32 exec_lo, exec_lo, s1
	s_cbranch_execnz .LBB41_27
; %bb.28:
	s_or_b32 exec_lo, exec_lo, s1
	global_load_dword v4, v[1:2], off offset:4
	v_cvt_f16_f32_e32 v3, v29
	v_cvt_f16_f32_e32 v5, v28
	s_mov_b32 s1, 0
	v_pack_b32_f16 v5, v3, v5
.LBB41_29:                              ; =>This Inner Loop Header: Depth=1
	s_waitcnt vmcnt(0)
	v_pk_add_f16 v3, v5, v4
	global_atomic_cmpswap v3, v[1:2], v[3:4], off offset:4 glc
	s_waitcnt vmcnt(0)
	v_cmp_eq_u32_e32 vcc_lo, v4, v3
	v_mov_b32_e32 v4, v3
	s_or_b32 s1, vcc_lo, s1
	s_andn2_b32 exec_lo, exec_lo, s1
	s_cbranch_execnz .LBB41_29
; %bb.30:
	s_or_b32 exec_lo, exec_lo, s1
	v_add_nc_u32_e32 v0, s0, v0
	v_cvt_f16_f32_e32 v3, v27
	v_cvt_f16_f32_e32 v5, v26
	s_mov_b32 s1, 0
	v_ashrrev_i32_e32 v1, 31, v0
	v_pack_b32_f16 v5, v3, v5
	;; [unrolled: 39-line block ×6, first 2 shown]
	v_lshlrev_b64 v[0:1], 1, v[0:1]
	v_add_co_u32 v0, vcc_lo, s14, v0
	v_add_co_ci_u32_e64 v1, null, s15, v1, vcc_lo
	global_load_dword v3, v[0:1], off
.LBB41_47:                              ; =>This Inner Loop Header: Depth=1
	s_waitcnt vmcnt(0)
	v_pk_add_f16 v2, v4, v3
	global_atomic_cmpswap v2, v[0:1], v[2:3], off glc
	s_waitcnt vmcnt(0)
	v_cmp_eq_u32_e32 vcc_lo, v3, v2
	v_mov_b32_e32 v3, v2
	s_or_b32 s0, vcc_lo, s0
	s_andn2_b32 exec_lo, exec_lo, s0
	s_cbranch_execnz .LBB41_47
; %bb.48:
	s_or_b32 exec_lo, exec_lo, s0
	global_load_dword v3, v[0:1], off offset:4
	v_cvt_f16_f32_e32 v2, v8
	v_cvt_f16_f32_e32 v4, v11
	s_mov_b32 s0, 0
	v_pack_b32_f16 v4, v2, v4
.LBB41_49:                              ; =>This Inner Loop Header: Depth=1
	s_waitcnt vmcnt(0)
	v_pk_add_f16 v2, v4, v3
	global_atomic_cmpswap v2, v[0:1], v[2:3], off offset:4 glc
	s_waitcnt vmcnt(0)
	v_cmp_eq_u32_e32 vcc_lo, v3, v2
	v_mov_b32_e32 v3, v2
	s_or_b32 s0, vcc_lo, s0
	s_andn2_b32 exec_lo, exec_lo, s0
	s_cbranch_execnz .LBB41_49
.LBB41_50:
	s_endpgm
	.section	.rodata,"a",@progbits
	.p2align	6, 0x0
	.amdhsa_kernel _ZN4vllm4gptq33gemm_half_q_half_gptq_4bit_kernelILb1ELi7EEEvPK6__halfPKjS6_S4_PS2_iiiibPKi
		.amdhsa_group_segment_fixed_size 1792
		.amdhsa_private_segment_fixed_size 0
		.amdhsa_kernarg_size 72
		.amdhsa_user_sgpr_count 6
		.amdhsa_user_sgpr_private_segment_buffer 1
		.amdhsa_user_sgpr_dispatch_ptr 0
		.amdhsa_user_sgpr_queue_ptr 0
		.amdhsa_user_sgpr_kernarg_segment_ptr 1
		.amdhsa_user_sgpr_dispatch_id 0
		.amdhsa_user_sgpr_flat_scratch_init 0
		.amdhsa_user_sgpr_private_segment_size 0
		.amdhsa_wavefront_size32 1
		.amdhsa_uses_dynamic_stack 0
		.amdhsa_system_sgpr_private_segment_wavefront_offset 0
		.amdhsa_system_sgpr_workgroup_id_x 1
		.amdhsa_system_sgpr_workgroup_id_y 1
		.amdhsa_system_sgpr_workgroup_id_z 1
		.amdhsa_system_sgpr_workgroup_info 0
		.amdhsa_system_vgpr_workitem_id 0
		.amdhsa_next_free_vgpr 72
		.amdhsa_next_free_sgpr 24
		.amdhsa_reserve_vcc 1
		.amdhsa_reserve_flat_scratch 0
		.amdhsa_float_round_mode_32 0
		.amdhsa_float_round_mode_16_64 0
		.amdhsa_float_denorm_mode_32 3
		.amdhsa_float_denorm_mode_16_64 3
		.amdhsa_dx10_clamp 1
		.amdhsa_ieee_mode 1
		.amdhsa_fp16_overflow 0
		.amdhsa_workgroup_processor_mode 1
		.amdhsa_memory_ordered 1
		.amdhsa_forward_progress 1
		.amdhsa_shared_vgpr_count 0
		.amdhsa_exception_fp_ieee_invalid_op 0
		.amdhsa_exception_fp_denorm_src 0
		.amdhsa_exception_fp_ieee_div_zero 0
		.amdhsa_exception_fp_ieee_overflow 0
		.amdhsa_exception_fp_ieee_underflow 0
		.amdhsa_exception_fp_ieee_inexact 0
		.amdhsa_exception_int_div_zero 0
	.end_amdhsa_kernel
	.section	.text._ZN4vllm4gptq33gemm_half_q_half_gptq_4bit_kernelILb1ELi7EEEvPK6__halfPKjS6_S4_PS2_iiiibPKi,"axG",@progbits,_ZN4vllm4gptq33gemm_half_q_half_gptq_4bit_kernelILb1ELi7EEEvPK6__halfPKjS6_S4_PS2_iiiibPKi,comdat
.Lfunc_end41:
	.size	_ZN4vllm4gptq33gemm_half_q_half_gptq_4bit_kernelILb1ELi7EEEvPK6__halfPKjS6_S4_PS2_iiiibPKi, .Lfunc_end41-_ZN4vllm4gptq33gemm_half_q_half_gptq_4bit_kernelILb1ELi7EEEvPK6__halfPKjS6_S4_PS2_iiiibPKi
                                        ; -- End function
	.set _ZN4vllm4gptq33gemm_half_q_half_gptq_4bit_kernelILb1ELi7EEEvPK6__halfPKjS6_S4_PS2_iiiibPKi.num_vgpr, 72
	.set _ZN4vllm4gptq33gemm_half_q_half_gptq_4bit_kernelILb1ELi7EEEvPK6__halfPKjS6_S4_PS2_iiiibPKi.num_agpr, 0
	.set _ZN4vllm4gptq33gemm_half_q_half_gptq_4bit_kernelILb1ELi7EEEvPK6__halfPKjS6_S4_PS2_iiiibPKi.numbered_sgpr, 24
	.set _ZN4vllm4gptq33gemm_half_q_half_gptq_4bit_kernelILb1ELi7EEEvPK6__halfPKjS6_S4_PS2_iiiibPKi.num_named_barrier, 0
	.set _ZN4vllm4gptq33gemm_half_q_half_gptq_4bit_kernelILb1ELi7EEEvPK6__halfPKjS6_S4_PS2_iiiibPKi.private_seg_size, 0
	.set _ZN4vllm4gptq33gemm_half_q_half_gptq_4bit_kernelILb1ELi7EEEvPK6__halfPKjS6_S4_PS2_iiiibPKi.uses_vcc, 1
	.set _ZN4vllm4gptq33gemm_half_q_half_gptq_4bit_kernelILb1ELi7EEEvPK6__halfPKjS6_S4_PS2_iiiibPKi.uses_flat_scratch, 0
	.set _ZN4vllm4gptq33gemm_half_q_half_gptq_4bit_kernelILb1ELi7EEEvPK6__halfPKjS6_S4_PS2_iiiibPKi.has_dyn_sized_stack, 0
	.set _ZN4vllm4gptq33gemm_half_q_half_gptq_4bit_kernelILb1ELi7EEEvPK6__halfPKjS6_S4_PS2_iiiibPKi.has_recursion, 0
	.set _ZN4vllm4gptq33gemm_half_q_half_gptq_4bit_kernelILb1ELi7EEEvPK6__halfPKjS6_S4_PS2_iiiibPKi.has_indirect_call, 0
	.section	.AMDGPU.csdata,"",@progbits
; Kernel info:
; codeLenInByte = 11796
; TotalNumSgprs: 26
; NumVgprs: 72
; ScratchSize: 0
; MemoryBound: 0
; FloatMode: 240
; IeeeMode: 1
; LDSByteSize: 1792 bytes/workgroup (compile time only)
; SGPRBlocks: 0
; VGPRBlocks: 8
; NumSGPRsForWavesPerEU: 26
; NumVGPRsForWavesPerEU: 72
; Occupancy: 12
; WaveLimiterHint : 0
; COMPUTE_PGM_RSRC2:SCRATCH_EN: 0
; COMPUTE_PGM_RSRC2:USER_SGPR: 6
; COMPUTE_PGM_RSRC2:TRAP_HANDLER: 0
; COMPUTE_PGM_RSRC2:TGID_X_EN: 1
; COMPUTE_PGM_RSRC2:TGID_Y_EN: 1
; COMPUTE_PGM_RSRC2:TGID_Z_EN: 1
; COMPUTE_PGM_RSRC2:TIDIG_COMP_CNT: 0
	.section	.text._ZN4vllm4gptq33gemm_half_q_half_gptq_8bit_kernelILb1ELi7EEEvPK6__halfPKjS6_S4_PS2_iiiibPKi,"axG",@progbits,_ZN4vllm4gptq33gemm_half_q_half_gptq_8bit_kernelILb1ELi7EEEvPK6__halfPKjS6_S4_PS2_iiiibPKi,comdat
	.protected	_ZN4vllm4gptq33gemm_half_q_half_gptq_8bit_kernelILb1ELi7EEEvPK6__halfPKjS6_S4_PS2_iiiibPKi ; -- Begin function _ZN4vllm4gptq33gemm_half_q_half_gptq_8bit_kernelILb1ELi7EEEvPK6__halfPKjS6_S4_PS2_iiiibPKi
	.globl	_ZN4vllm4gptq33gemm_half_q_half_gptq_8bit_kernelILb1ELi7EEEvPK6__halfPKjS6_S4_PS2_iiiibPKi
	.p2align	8
	.type	_ZN4vllm4gptq33gemm_half_q_half_gptq_8bit_kernelILb1ELi7EEEvPK6__halfPKjS6_S4_PS2_iiiibPKi,@function
_ZN4vllm4gptq33gemm_half_q_half_gptq_8bit_kernelILb1ELi7EEEvPK6__halfPKjS6_S4_PS2_iiiibPKi: ; @_ZN4vllm4gptq33gemm_half_q_half_gptq_8bit_kernelILb1ELi7EEEvPK6__halfPKjS6_S4_PS2_iiiibPKi
; %bb.0:
	s_load_dwordx4 s[0:3], s[4:5], 0x2c
	s_lshl_b32 s18, s8, 7
	s_mul_i32 s7, s7, 7
	s_add_i32 s8, s18, 0x80
	s_mov_b32 s20, exec_lo
	v_cvt_f64_u32_e32 v[1:2], s8
	s_load_dwordx8 s[8:15], s[4:5], 0x8
	s_waitcnt lgkmcnt(0)
	v_cvt_f64_i32_e32 v[3:4], s1
	v_min_f64 v[1:2], v[1:2], v[3:4]
	v_cvt_i32_f64_e32 v2, v[1:2]
	v_add_nc_u32_e32 v1, s18, v0
	v_readfirstlane_b32 s19, v2
	v_cmpx_lt_u32_e64 v1, v2
	s_cbranch_execz .LBB42_16
; %bb.1:
	s_clause 0x1
	s_load_dwordx2 s[16:17], s[4:5], 0x40
	s_load_dwordx2 s[4:5], s[4:5], 0x0
	v_mov_b32_e32 v2, 0
	v_lshlrev_b64 v[3:4], 2, v[1:2]
	v_mov_b32_e32 v6, v2
	v_mov_b32_e32 v5, v1
	s_waitcnt lgkmcnt(0)
	v_add_co_u32 v3, vcc_lo, s16, v3
	v_add_co_ci_u32_e64 v4, null, s17, v4, vcc_lo
	s_cmp_lg_u64 s[16:17], 0
	s_cselect_b32 s21, -1, 0
	s_cmp_eq_u64 s[16:17], 0
	s_cbranch_scc1 .LBB42_3
; %bb.2:
	global_load_dword v5, v[3:4], off
	s_waitcnt vmcnt(0)
	v_ashrrev_i32_e32 v6, 31, v5
.LBB42_3:
	s_mul_i32 s16, s7, s1
	v_lshlrev_b64 v[5:6], 1, v[5:6]
	s_ashr_i32 s17, s16, 31
	v_cndmask_b32_e64 v8, 0, 1, s21
	s_lshl_b64 s[22:23], s[16:17], 1
	v_lshlrev_b32_e32 v7, 1, v0
	s_add_u32 s17, s4, s22
	s_addc_u32 s22, s5, s23
	v_add_co_u32 v5, vcc_lo, s17, v5
	v_add_co_ci_u32_e64 v6, null, s22, v6, vcc_lo
	s_andn2_b32 vcc_lo, exec_lo, s21
	global_load_ushort v9, v[5:6], off
	v_mov_b32_e32 v6, v2
	v_mov_b32_e32 v5, v1
	s_waitcnt vmcnt(0)
	ds_write_b16 v7, v9
	s_cbranch_vccnz .LBB42_5
; %bb.4:
	global_load_dword v5, v[3:4], off
	s_waitcnt vmcnt(0)
	v_ashrrev_i32_e32 v6, 31, v5
.LBB42_5:
	s_add_i32 s16, s16, s1
	v_lshlrev_b64 v[5:6], 1, v[5:6]
	s_ashr_i32 s17, s16, 31
	s_lshl_b64 s[22:23], s[16:17], 1
	s_add_u32 s17, s4, s22
	s_addc_u32 s21, s5, s23
	v_add_co_u32 v5, vcc_lo, s17, v5
	v_add_co_ci_u32_e64 v6, null, s21, v6, vcc_lo
	v_cmp_ne_u32_e32 vcc_lo, 1, v8
	global_load_ushort v9, v[5:6], off
	v_mov_b32_e32 v6, v2
	v_mov_b32_e32 v5, v1
	s_waitcnt vmcnt(0)
	ds_write_b16 v7, v9 offset:256
	s_cbranch_vccnz .LBB42_7
; %bb.6:
	global_load_dword v5, v[3:4], off
	s_waitcnt vmcnt(0)
	v_ashrrev_i32_e32 v6, 31, v5
.LBB42_7:
	s_add_i32 s16, s16, s1
	v_lshlrev_b64 v[5:6], 1, v[5:6]
	s_ashr_i32 s17, s16, 31
	s_lshl_b64 s[22:23], s[16:17], 1
	s_add_u32 s17, s4, s22
	s_addc_u32 s21, s5, s23
	v_add_co_u32 v5, vcc_lo, s17, v5
	v_add_co_ci_u32_e64 v6, null, s21, v6, vcc_lo
	v_cmp_ne_u32_e32 vcc_lo, 1, v8
	global_load_ushort v9, v[5:6], off
	v_mov_b32_e32 v6, v2
	v_mov_b32_e32 v5, v1
	s_waitcnt vmcnt(0)
	ds_write_b16 v7, v9 offset:512
	;; [unrolled: 20-line block ×4, first 2 shown]
	s_cbranch_vccnz .LBB42_13
; %bb.12:
	global_load_dword v5, v[3:4], off
	s_waitcnt vmcnt(0)
	v_ashrrev_i32_e32 v6, 31, v5
.LBB42_13:
	s_add_i32 s16, s16, s1
	v_lshlrev_b64 v[5:6], 1, v[5:6]
	s_ashr_i32 s17, s16, 31
	s_lshl_b64 s[22:23], s[16:17], 1
	s_add_u32 s17, s4, s22
	s_addc_u32 s21, s5, s23
	v_add_co_u32 v5, vcc_lo, s17, v5
	v_add_co_ci_u32_e64 v6, null, s21, v6, vcc_lo
	v_cmp_ne_u32_e32 vcc_lo, 1, v8
	global_load_ushort v5, v[5:6], off
	s_waitcnt vmcnt(0)
	ds_write_b16 v7, v5 offset:1280
	s_cbranch_vccnz .LBB42_15
; %bb.14:
	global_load_dword v1, v[3:4], off
	s_waitcnt vmcnt(0)
	v_ashrrev_i32_e32 v2, 31, v1
.LBB42_15:
	s_add_i32 s16, s16, s1
	v_lshlrev_b64 v[1:2], 1, v[1:2]
	s_ashr_i32 s17, s16, 31
	s_lshl_b64 s[16:17], s[16:17], 1
	s_add_u32 s4, s4, s16
	s_addc_u32 s5, s5, s17
	v_add_co_u32 v1, vcc_lo, s4, v1
	v_add_co_ci_u32_e64 v2, null, s5, v2, vcc_lo
	global_load_ushort v1, v[1:2], off
	s_waitcnt vmcnt(0)
	ds_write_b16 v7, v1 offset:1536
.LBB42_16:
	s_or_b32 exec_lo, exec_lo, s20
	v_lshlrev_b32_e32 v0, 2, v0
	s_mov_b32 s4, exec_lo
	v_lshl_add_u32 v16, s6, 9, v0
	v_cmpx_gt_i32_e64 s0, v16
	s_cbranch_execz .LBB42_50
; %bb.17:
	s_abs_i32 s5, s2
	v_mov_b32_e32 v15, 0
	v_cvt_f32_u32_e32 v0, s5
	v_mov_b32_e32 v14, 0
	v_mov_b32_e32 v21, 0
	;; [unrolled: 1-line block ×4, first 2 shown]
	v_rcp_iflag_f32_e32 v0, v0
	v_mov_b32_e32 v32, 0
	v_mov_b32_e32 v35, 0
	;; [unrolled: 1-line block ×9, first 2 shown]
	v_mul_f32_e32 v0, 0x4f7ffffe, v0
	s_cmp_ge_i32 s18, s19
	s_mov_b32 s4, 0
	s_waitcnt lgkmcnt(0)
	s_barrier
	v_cvt_u32_f32_e32 v0, v0
	buffer_gl0_inv
	v_readfirstlane_b32 s6, v0
	s_cbranch_scc1 .LBB42_22
; %bb.18:
	s_sub_i32 s16, 0, s5
	s_abs_i32 s17, s1
	s_mul_i32 s16, s16, s6
	s_ashr_i32 s1, s1, 31
	s_mul_hi_u32 s16, s6, s16
	s_ashr_i32 s2, s2, 31
	s_add_i32 s6, s6, s16
	s_xor_b32 s1, s1, s2
	s_mul_hi_u32 s6, s17, s6
	v_ashrrev_i32_e32 v22, 2, v16
	s_mul_i32 s16, s6, s5
	v_ashrrev_i32_e32 v17, 31, v16
	s_sub_i32 s2, s17, s16
	s_add_i32 s16, s6, 1
	s_sub_i32 s17, s2, s5
	s_cmp_ge_u32 s2, s5
	v_mov_b32_e32 v37, 0
	s_cselect_b32 s6, s16, s6
	s_cselect_b32 s2, s17, s2
	s_add_i32 s16, s6, 1
	s_cmp_ge_u32 s2, s5
	v_mov_b32_e32 v36, 0
	s_cselect_b32 s2, s16, s6
	v_mov_b32_e32 v63, 0
	s_xor_b32 s2, s2, s1
	v_mov_b32_e32 v64, 0
	s_sub_i32 s5, s2, s1
	s_bitcmp1_b32 s3, 0
	v_cvt_f32_u32_e32 v0, s5
	s_cselect_b32 s2, -1, 0
	s_sub_i32 s3, 0, s5
	s_xor_b32 s16, s2, -1
	v_mov_b32_e32 v61, 0
	v_rcp_iflag_f32_e32 v0, v0
	v_mov_b32_e32 v62, 0
	v_mov_b32_e32 v34, 0
	;; [unrolled: 1-line block ×9, first 2 shown]
	v_mul_f32_e32 v0, 0x4f7ffffe, v0
	v_cvt_u32_f32_e32 v0, v0
	v_readfirstlane_b32 s1, v0
	s_mul_i32 s3, s3, s1
	s_mul_hi_u32 s3, s1, s3
	s_add_i32 s1, s1, s3
	s_mul_hi_u32 s1, s18, s1
	s_mul_i32 s3, s1, s5
	s_sub_i32 s2, s18, s3
	s_add_i32 s3, s1, 1
	s_sub_i32 s6, s2, s5
	s_cmp_ge_u32 s2, s5
	s_cselect_b32 s1, s3, s1
	s_cselect_b32 s2, s6, s2
	s_add_i32 s3, s1, 1
	s_cmp_ge_u32 s2, s5
	s_cselect_b32 s6, s3, s1
	s_mul_i32 s1, s6, s0
	s_ashr_i32 s2, s1, 31
	v_add_nc_u32_e32 v2, s1, v16
	s_lshr_b32 s2, s2, 30
	s_add_i32 s2, s1, s2
	s_lshr_b32 s1, s18, 2
	s_ashr_i32 s2, s2, 2
	v_ashrrev_i32_e32 v3, 31, v2
	v_add_nc_u32_e32 v0, s2, v22
	s_mul_i32 s2, s0, s1
	s_ashr_i32 s3, s2, 31
	v_lshlrev_b64 v[2:3], 1, v[2:3]
	v_ashrrev_i32_e32 v1, 31, v0
	s_lshl_b64 s[2:3], s[2:3], 2
	s_add_u32 s1, s8, s2
	s_addc_u32 s2, s9, s3
	v_lshlrev_b64 v[0:1], 2, v[0:1]
	s_add_i32 s8, s5, s18
	v_add_co_u32 v0, vcc_lo, s10, v0
	v_add_co_ci_u32_e64 v1, null, s11, v1, vcc_lo
	global_load_dword v4, v[0:1], off
	v_add_co_u32 v0, vcc_lo, s12, v2
	v_add_co_ci_u32_e64 v1, null, s13, v3, vcc_lo
	global_load_dwordx2 v[18:19], v[0:1], off
	v_lshlrev_b64 v[0:1], 2, v[16:17]
	v_cndmask_b32_e64 v17, 0, 1, s16
	v_add_co_u32 v0, vcc_lo, s1, v0
	v_add_co_ci_u32_e64 v1, null, s2, v1, vcc_lo
	s_ashr_i32 s1, s0, 31
	s_lshl_b64 s[2:3], s[0:1], 2
	s_waitcnt vmcnt(1)
	v_and_b32_e32 v23, 0xff, v4
	v_bfe_u32 v24, v4, 8, 8
	v_bfe_u32 v25, v4, 16, 8
	v_lshrrev_b32_e32 v26, 24, v4
	s_branch .LBB42_20
.LBB42_19:                              ;   in Loop: Header=BB42_20 Depth=1
	global_load_dwordx4 v[4:7], v[0:1], off
	v_add_co_u32 v12, vcc_lo, v0, s2
	v_add_co_ci_u32_e64 v13, null, s3, v1, vcc_lo
	v_add_nc_u32_e32 v31, v23, v17
	v_add_nc_u32_e32 v30, v24, v17
	;; [unrolled: 1-line block ×3, first 2 shown]
	global_load_dwordx4 v[0:3], v[12:13], off
	v_add_nc_u32_e32 v28, v26, v17
	v_mov_b32_e32 v27, s4
	v_add_co_u32 v12, vcc_lo, v12, s2
	v_add_co_ci_u32_e64 v13, null, s3, v13, vcc_lo
	s_add_i32 s18, s18, 32
	s_add_i32 s4, s4, 64
	s_cmp_ge_i32 s18, s19
	s_waitcnt vmcnt(1)
	v_sub_nc_u32_sdwa v8, v4, v31 dst_sel:DWORD dst_unused:UNUSED_PAD src0_sel:BYTE_0 src1_sel:DWORD
	v_cvt_f32_i32_e32 v8, v8
	v_cvt_f16_f32_e32 v38, v8
	v_sub_nc_u32_sdwa v8, v4, v31 dst_sel:DWORD dst_unused:UNUSED_PAD src0_sel:BYTE_1 src1_sel:DWORD
	v_cvt_f32_i32_e32 v8, v8
	v_cvt_f16_f32_e32 v39, v8
	v_sub_nc_u32_sdwa v8, v4, v31 dst_sel:DWORD dst_unused:UNUSED_PAD src0_sel:BYTE_2 src1_sel:DWORD
	v_sub_nc_u32_sdwa v4, v4, v31 dst_sel:DWORD dst_unused:UNUSED_PAD src0_sel:BYTE_3 src1_sel:DWORD
	v_cvt_f32_i32_e32 v8, v8
	v_cvt_f32_i32_e32 v4, v4
	v_cvt_f16_f32_e32 v40, v8
	v_cvt_f16_f32_e32 v41, v4
	s_waitcnt vmcnt(0)
	v_sub_nc_u32_sdwa v4, v0, v31 dst_sel:DWORD dst_unused:UNUSED_PAD src0_sel:BYTE_0 src1_sel:DWORD
	v_cvt_f32_i32_e32 v4, v4
	v_cvt_f16_f32_e32 v42, v4
	v_sub_nc_u32_sdwa v4, v0, v31 dst_sel:DWORD dst_unused:UNUSED_PAD src0_sel:BYTE_1 src1_sel:DWORD
	v_cvt_f32_i32_e32 v4, v4
	v_cvt_f16_f32_e32 v43, v4
	v_sub_nc_u32_sdwa v4, v0, v31 dst_sel:DWORD dst_unused:UNUSED_PAD src0_sel:BYTE_2 src1_sel:DWORD
	v_sub_nc_u32_sdwa v0, v0, v31 dst_sel:DWORD dst_unused:UNUSED_PAD src0_sel:BYTE_3 src1_sel:DWORD
	v_cvt_f32_i32_e32 v4, v4
	v_cvt_f32_i32_e32 v0, v0
	v_cvt_f16_f32_e32 v44, v4
	v_cvt_f16_f32_e32 v45, v0
	v_sub_nc_u32_sdwa v0, v5, v30 dst_sel:DWORD dst_unused:UNUSED_PAD src0_sel:BYTE_0 src1_sel:DWORD
	v_cvt_f32_i32_e32 v0, v0
	v_cvt_f16_f32_e32 v46, v0
	v_sub_nc_u32_sdwa v0, v5, v30 dst_sel:DWORD dst_unused:UNUSED_PAD src0_sel:BYTE_1 src1_sel:DWORD
	v_cvt_f32_i32_e32 v0, v0
	v_cvt_f16_f32_e32 v47, v0
	v_sub_nc_u32_sdwa v0, v5, v30 dst_sel:DWORD dst_unused:UNUSED_PAD src0_sel:BYTE_2 src1_sel:DWORD
	v_cvt_f32_i32_e32 v0, v0
	v_cvt_f16_f32_e32 v48, v0
	v_sub_nc_u32_sdwa v0, v5, v30 dst_sel:DWORD dst_unused:UNUSED_PAD src0_sel:BYTE_3 src1_sel:DWORD
	v_cvt_f32_i32_e32 v0, v0
	v_cvt_f16_f32_e32 v49, v0
	v_sub_nc_u32_sdwa v0, v1, v30 dst_sel:DWORD dst_unused:UNUSED_PAD src0_sel:BYTE_0 src1_sel:DWORD
	v_cvt_f32_i32_e32 v0, v0
	v_cvt_f16_f32_e32 v50, v0
	v_sub_nc_u32_sdwa v0, v1, v30 dst_sel:DWORD dst_unused:UNUSED_PAD src0_sel:BYTE_1 src1_sel:DWORD
	v_cvt_f32_i32_e32 v0, v0
	v_cvt_f16_f32_e32 v51, v0
	v_sub_nc_u32_sdwa v0, v1, v30 dst_sel:DWORD dst_unused:UNUSED_PAD src0_sel:BYTE_2 src1_sel:DWORD
	v_cvt_f32_i32_e32 v0, v0
	v_cvt_f16_f32_e32 v52, v0
	v_sub_nc_u32_sdwa v0, v1, v30 dst_sel:DWORD dst_unused:UNUSED_PAD src0_sel:BYTE_3 src1_sel:DWORD
	v_cvt_f32_i32_e32 v0, v0
	;; [unrolled: 12-line block ×6, first 2 shown]
	v_cvt_f16_f32_e32 v94, v0
	ds_read_b128 v[68:71], v27
	ds_read_b128 v[8:11], v27 offset:16
	ds_read_b128 v[4:7], v27 offset:32
	;; [unrolled: 1-line block ×4, first 2 shown]
	s_waitcnt lgkmcnt(4)
	v_fma_mix_f32 v72, v38, v68, 0 op_sel_hi:[1,1,0]
	v_fma_mix_f32 v72, v39, v68, v72 op_sel:[0,1,0] op_sel_hi:[1,1,0]
	v_fma_mix_f32 v72, v40, v69, v72 op_sel_hi:[1,1,0]
	v_fma_mix_f32 v72, v41, v69, v72 op_sel:[0,1,0] op_sel_hi:[1,1,0]
	;; [unrolled: 2-line block ×4, first 2 shown]
	v_fma_mixlo_f16 v72, v72, v18, 0 op_sel_hi:[0,1,0]
	v_add_f16_e32 v93, v15, v72
	v_fma_mix_f32 v72, v46, v68, 0 op_sel_hi:[1,1,0]
	v_fma_mix_f32 v72, v47, v68, v72 op_sel:[0,1,0] op_sel_hi:[1,1,0]
	v_fma_mix_f32 v72, v48, v69, v72 op_sel_hi:[1,1,0]
	v_fma_mix_f32 v72, v49, v69, v72 op_sel:[0,1,0] op_sel_hi:[1,1,0]
	;; [unrolled: 2-line block ×4, first 2 shown]
	v_fma_mixlo_f16 v72, v72, v18, 0 op_sel:[0,1,0] op_sel_hi:[0,1,0]
	v_add_f16_sdwa v95, v15, v72 dst_sel:DWORD dst_unused:UNUSED_PAD src0_sel:WORD_1 src1_sel:DWORD
	v_fma_mix_f32 v15, v54, v68, 0 op_sel_hi:[1,1,0]
	v_fma_mix_f32 v15, v55, v68, v15 op_sel:[0,1,0] op_sel_hi:[1,1,0]
	v_fma_mix_f32 v15, v56, v69, v15 op_sel_hi:[1,1,0]
	v_fma_mix_f32 v15, v57, v69, v15 op_sel:[0,1,0] op_sel_hi:[1,1,0]
	;; [unrolled: 2-line block ×4, first 2 shown]
	v_fma_mixlo_f16 v15, v15, v19, 0 op_sel_hi:[0,1,0]
	v_add_f16_e32 v96, v14, v15
	v_fma_mix_f32 v15, v66, v68, 0 op_sel_hi:[1,1,0]
	v_fma_mix_f32 v15, v67, v68, v15 op_sel:[0,1,0] op_sel_hi:[1,1,0]
	v_fma_mix_f32 v15, v88, v69, v15 op_sel_hi:[1,1,0]
	v_fma_mix_f32 v15, v89, v69, v15 op_sel:[0,1,0] op_sel_hi:[1,1,0]
	v_fma_mix_f32 v15, v90, v70, v15 op_sel_hi:[1,1,0]
	v_fma_mix_f32 v15, v91, v70, v15 op_sel:[0,1,0] op_sel_hi:[1,1,0]
	v_fma_mix_f32 v15, v92, v71, v15 op_sel_hi:[1,1,0]
	v_fma_mix_f32 v15, v94, v71, v15 op_sel:[0,1,0] op_sel_hi:[1,1,0]
	ds_read_b128 v[71:74], v27 offset:256
	v_fma_mixlo_f16 v15, v15, v19, 0 op_sel:[0,1,0] op_sel_hi:[0,1,0]
	v_add_f16_sdwa v97, v14, v15 dst_sel:DWORD dst_unused:UNUSED_PAD src0_sel:WORD_1 src1_sel:DWORD
	s_waitcnt lgkmcnt(0)
	v_fma_mix_f32 v14, v38, v71, 0 op_sel_hi:[1,1,0]
	v_fma_mix_f32 v14, v39, v71, v14 op_sel:[0,1,0] op_sel_hi:[1,1,0]
	v_fma_mix_f32 v14, v40, v72, v14 op_sel_hi:[1,1,0]
	v_fma_mix_f32 v14, v41, v72, v14 op_sel:[0,1,0] op_sel_hi:[1,1,0]
	v_fma_mix_f32 v14, v42, v73, v14 op_sel_hi:[1,1,0]
	v_fma_mix_f32 v14, v43, v73, v14 op_sel:[0,1,0] op_sel_hi:[1,1,0]
	v_fma_mix_f32 v14, v44, v74, v14 op_sel_hi:[1,1,0]
	v_fma_mix_f32 v14, v45, v74, v14 op_sel:[0,1,0] op_sel_hi:[1,1,0]
	v_fma_mixlo_f16 v14, v14, v18, 0 op_sel_hi:[0,1,0]
	v_add_f16_e32 v68, v21, v14
	v_fma_mix_f32 v14, v46, v71, 0 op_sel_hi:[1,1,0]
	v_fma_mix_f32 v14, v47, v71, v14 op_sel:[0,1,0] op_sel_hi:[1,1,0]
	v_fma_mix_f32 v14, v48, v72, v14 op_sel_hi:[1,1,0]
	v_fma_mix_f32 v14, v49, v72, v14 op_sel:[0,1,0] op_sel_hi:[1,1,0]
	v_fma_mix_f32 v14, v50, v73, v14 op_sel_hi:[1,1,0]
	v_fma_mix_f32 v14, v51, v73, v14 op_sel:[0,1,0] op_sel_hi:[1,1,0]
	v_fma_mix_f32 v14, v52, v74, v14 op_sel_hi:[1,1,0]
	v_fma_mix_f32 v14, v53, v74, v14 op_sel:[0,1,0] op_sel_hi:[1,1,0]
	v_fma_mixlo_f16 v14, v14, v18, 0 op_sel:[0,1,0] op_sel_hi:[0,1,0]
	v_add_f16_sdwa v69, v21, v14 dst_sel:DWORD dst_unused:UNUSED_PAD src0_sel:WORD_1 src1_sel:DWORD
	v_fma_mix_f32 v14, v54, v71, 0 op_sel_hi:[1,1,0]
	v_fma_mix_f32 v14, v55, v71, v14 op_sel:[0,1,0] op_sel_hi:[1,1,0]
	v_fma_mix_f32 v14, v56, v72, v14 op_sel_hi:[1,1,0]
	v_fma_mix_f32 v14, v57, v72, v14 op_sel:[0,1,0] op_sel_hi:[1,1,0]
	v_fma_mix_f32 v14, v58, v73, v14 op_sel_hi:[1,1,0]
	v_fma_mix_f32 v14, v59, v73, v14 op_sel:[0,1,0] op_sel_hi:[1,1,0]
	v_fma_mix_f32 v14, v60, v74, v14 op_sel_hi:[1,1,0]
	v_fma_mix_f32 v14, v65, v74, v14 op_sel:[0,1,0] op_sel_hi:[1,1,0]
	v_fma_mixlo_f16 v14, v14, v19, 0 op_sel_hi:[0,1,0]
	v_add_f16_e32 v70, v20, v14
	v_fma_mix_f32 v14, v66, v71, 0 op_sel_hi:[1,1,0]
	v_fma_mix_f32 v14, v67, v71, v14 op_sel:[0,1,0] op_sel_hi:[1,1,0]
	v_fma_mix_f32 v14, v88, v72, v14 op_sel_hi:[1,1,0]
	v_fma_mix_f32 v14, v89, v72, v14 op_sel:[0,1,0] op_sel_hi:[1,1,0]
	v_fma_mix_f32 v14, v90, v73, v14 op_sel_hi:[1,1,0]
	v_fma_mix_f32 v14, v91, v73, v14 op_sel:[0,1,0] op_sel_hi:[1,1,0]
	v_fma_mix_f32 v14, v92, v74, v14 op_sel_hi:[1,1,0]
	v_fma_mix_f32 v14, v94, v74, v14 op_sel:[0,1,0] op_sel_hi:[1,1,0]
	v_fma_mixlo_f16 v14, v14, v19, 0 op_sel:[0,1,0] op_sel_hi:[0,1,0]
	v_add_f16_sdwa v71, v20, v14 dst_sel:DWORD dst_unused:UNUSED_PAD src0_sel:WORD_1 src1_sel:DWORD
	;; [unrolled: 20-line block ×3, first 2 shown]
	v_fma_mix_f32 v14, v54, v75, 0 op_sel_hi:[1,1,0]
	v_fma_mix_f32 v14, v55, v75, v14 op_sel:[0,1,0] op_sel_hi:[1,1,0]
	v_fma_mix_f32 v14, v56, v76, v14 op_sel_hi:[1,1,0]
	v_fma_mix_f32 v14, v57, v76, v14 op_sel:[0,1,0] op_sel_hi:[1,1,0]
	;; [unrolled: 2-line block ×4, first 2 shown]
	v_fma_mixlo_f16 v14, v14, v19, 0 op_sel_hi:[0,1,0]
	v_add_f16_e32 v74, v32, v14
	v_fma_mix_f32 v14, v66, v75, 0 op_sel_hi:[1,1,0]
	v_fma_mix_f32 v14, v67, v75, v14 op_sel:[0,1,0] op_sel_hi:[1,1,0]
	v_fma_mix_f32 v14, v88, v76, v14 op_sel_hi:[1,1,0]
	v_fma_mix_f32 v14, v89, v76, v14 op_sel:[0,1,0] op_sel_hi:[1,1,0]
	;; [unrolled: 2-line block ×4, first 2 shown]
	ds_read_b128 v[76:79], v27 offset:768
	v_fma_mixlo_f16 v14, v14, v19, 0 op_sel:[0,1,0] op_sel_hi:[0,1,0]
	v_add_f16_sdwa v75, v32, v14 dst_sel:DWORD dst_unused:UNUSED_PAD src0_sel:WORD_1 src1_sel:DWORD
	s_waitcnt lgkmcnt(0)
	v_fma_mix_f32 v14, v38, v76, 0 op_sel_hi:[1,1,0]
	v_fma_mix_f32 v14, v39, v76, v14 op_sel:[0,1,0] op_sel_hi:[1,1,0]
	v_fma_mix_f32 v14, v40, v77, v14 op_sel_hi:[1,1,0]
	v_fma_mix_f32 v14, v41, v77, v14 op_sel:[0,1,0] op_sel_hi:[1,1,0]
	;; [unrolled: 2-line block ×4, first 2 shown]
	v_fma_mixlo_f16 v14, v14, v18, 0 op_sel_hi:[0,1,0]
	v_add_f16_e32 v80, v35, v14
	v_fma_mix_f32 v14, v46, v76, 0 op_sel_hi:[1,1,0]
	v_fma_mix_f32 v14, v47, v76, v14 op_sel:[0,1,0] op_sel_hi:[1,1,0]
	v_fma_mix_f32 v14, v48, v77, v14 op_sel_hi:[1,1,0]
	v_fma_mix_f32 v14, v49, v77, v14 op_sel:[0,1,0] op_sel_hi:[1,1,0]
	;; [unrolled: 2-line block ×4, first 2 shown]
	v_fma_mixlo_f16 v14, v14, v18, 0 op_sel:[0,1,0] op_sel_hi:[0,1,0]
	v_add_f16_sdwa v81, v35, v14 dst_sel:DWORD dst_unused:UNUSED_PAD src0_sel:WORD_1 src1_sel:DWORD
	v_fma_mix_f32 v14, v54, v76, 0 op_sel_hi:[1,1,0]
	v_fma_mix_f32 v14, v55, v76, v14 op_sel:[0,1,0] op_sel_hi:[1,1,0]
	v_fma_mix_f32 v14, v56, v77, v14 op_sel_hi:[1,1,0]
	v_fma_mix_f32 v14, v57, v77, v14 op_sel:[0,1,0] op_sel_hi:[1,1,0]
	;; [unrolled: 2-line block ×4, first 2 shown]
	v_fma_mixlo_f16 v14, v14, v19, 0 op_sel_hi:[0,1,0]
	v_add_f16_e32 v82, v34, v14
	v_fma_mix_f32 v14, v66, v76, 0 op_sel_hi:[1,1,0]
	v_fma_mix_f32 v14, v67, v76, v14 op_sel:[0,1,0] op_sel_hi:[1,1,0]
	v_fma_mix_f32 v14, v88, v77, v14 op_sel_hi:[1,1,0]
	v_fma_mix_f32 v14, v89, v77, v14 op_sel:[0,1,0] op_sel_hi:[1,1,0]
	;; [unrolled: 2-line block ×4, first 2 shown]
	v_fma_mixlo_f16 v14, v14, v19, 0 op_sel:[0,1,0] op_sel_hi:[0,1,0]
	v_add_f16_sdwa v83, v34, v14 dst_sel:DWORD dst_unused:UNUSED_PAD src0_sel:WORD_1 src1_sel:DWORD
	ds_read_b128 v[32:35], v27 offset:1024
	s_waitcnt lgkmcnt(0)
	v_fma_mix_f32 v14, v38, v32, 0 op_sel_hi:[1,1,0]
	v_fma_mix_f32 v14, v39, v32, v14 op_sel:[0,1,0] op_sel_hi:[1,1,0]
	v_fma_mix_f32 v14, v40, v33, v14 op_sel_hi:[1,1,0]
	v_fma_mix_f32 v14, v41, v33, v14 op_sel:[0,1,0] op_sel_hi:[1,1,0]
	;; [unrolled: 2-line block ×4, first 2 shown]
	v_fma_mixlo_f16 v14, v14, v18, 0 op_sel_hi:[0,1,0]
	v_add_f16_e32 v84, v62, v14
	v_fma_mix_f32 v14, v46, v32, 0 op_sel_hi:[1,1,0]
	v_fma_mix_f32 v14, v47, v32, v14 op_sel:[0,1,0] op_sel_hi:[1,1,0]
	v_fma_mix_f32 v14, v48, v33, v14 op_sel_hi:[1,1,0]
	v_fma_mix_f32 v14, v49, v33, v14 op_sel:[0,1,0] op_sel_hi:[1,1,0]
	;; [unrolled: 2-line block ×4, first 2 shown]
	v_fma_mixlo_f16 v14, v14, v18, 0 op_sel:[0,1,0] op_sel_hi:[0,1,0]
	v_add_f16_sdwa v85, v62, v14 dst_sel:DWORD dst_unused:UNUSED_PAD src0_sel:WORD_1 src1_sel:DWORD
	v_fma_mix_f32 v14, v54, v32, 0 op_sel_hi:[1,1,0]
	v_fma_mix_f32 v14, v55, v32, v14 op_sel:[0,1,0] op_sel_hi:[1,1,0]
	v_fma_mix_f32 v14, v56, v33, v14 op_sel_hi:[1,1,0]
	v_fma_mix_f32 v14, v57, v33, v14 op_sel:[0,1,0] op_sel_hi:[1,1,0]
	v_fma_mix_f32 v14, v58, v34, v14 op_sel_hi:[1,1,0]
	v_fma_mix_f32 v14, v59, v34, v14 op_sel:[0,1,0] op_sel_hi:[1,1,0]
	v_fma_mix_f32 v14, v60, v35, v14 op_sel_hi:[1,1,0]
	v_fma_mix_f32 v14, v65, v35, v14 op_sel:[0,1,0] op_sel_hi:[1,1,0]
	v_fma_mixlo_f16 v14, v14, v19, 0 op_sel_hi:[0,1,0]
	v_add_f16_e32 v86, v61, v14
	v_fma_mix_f32 v14, v66, v32, 0 op_sel_hi:[1,1,0]
	v_fma_mix_f32 v14, v67, v32, v14 op_sel:[0,1,0] op_sel_hi:[1,1,0]
	v_fma_mix_f32 v14, v88, v33, v14 op_sel_hi:[1,1,0]
	v_fma_mix_f32 v14, v89, v33, v14 op_sel:[0,1,0] op_sel_hi:[1,1,0]
	;; [unrolled: 2-line block ×4, first 2 shown]
	ds_read_b128 v[32:35], v27 offset:1280
	v_fma_mixlo_f16 v14, v14, v19, 0 op_sel:[0,1,0] op_sel_hi:[0,1,0]
	v_add_f16_sdwa v87, v61, v14 dst_sel:DWORD dst_unused:UNUSED_PAD src0_sel:WORD_1 src1_sel:DWORD
	s_waitcnt lgkmcnt(0)
	v_fma_mix_f32 v14, v38, v32, 0 op_sel_hi:[1,1,0]
	v_fma_mix_f32 v14, v39, v32, v14 op_sel:[0,1,0] op_sel_hi:[1,1,0]
	v_fma_mix_f32 v14, v40, v33, v14 op_sel_hi:[1,1,0]
	v_fma_mix_f32 v14, v41, v33, v14 op_sel:[0,1,0] op_sel_hi:[1,1,0]
	;; [unrolled: 2-line block ×4, first 2 shown]
	v_fma_mixlo_f16 v14, v14, v18, 0 op_sel_hi:[0,1,0]
	v_add_f16_e32 v76, v64, v14
	v_fma_mix_f32 v14, v46, v32, 0 op_sel_hi:[1,1,0]
	v_fma_mix_f32 v14, v47, v32, v14 op_sel:[0,1,0] op_sel_hi:[1,1,0]
	v_fma_mix_f32 v14, v48, v33, v14 op_sel_hi:[1,1,0]
	v_fma_mix_f32 v14, v49, v33, v14 op_sel:[0,1,0] op_sel_hi:[1,1,0]
	;; [unrolled: 2-line block ×4, first 2 shown]
	v_fma_mixlo_f16 v14, v14, v18, 0 op_sel:[0,1,0] op_sel_hi:[0,1,0]
	v_add_f16_sdwa v77, v64, v14 dst_sel:DWORD dst_unused:UNUSED_PAD src0_sel:WORD_1 src1_sel:DWORD
	v_fma_mix_f32 v14, v54, v32, 0 op_sel_hi:[1,1,0]
	v_fma_mix_f32 v14, v55, v32, v14 op_sel:[0,1,0] op_sel_hi:[1,1,0]
	v_fma_mix_f32 v14, v56, v33, v14 op_sel_hi:[1,1,0]
	v_fma_mix_f32 v14, v57, v33, v14 op_sel:[0,1,0] op_sel_hi:[1,1,0]
	;; [unrolled: 2-line block ×4, first 2 shown]
	v_fma_mixlo_f16 v14, v14, v19, 0 op_sel_hi:[0,1,0]
	v_add_f16_e32 v78, v63, v14
	v_fma_mix_f32 v14, v66, v32, 0 op_sel_hi:[1,1,0]
	v_fma_mix_f32 v14, v67, v32, v14 op_sel:[0,1,0] op_sel_hi:[1,1,0]
	v_fma_mix_f32 v14, v88, v33, v14 op_sel_hi:[1,1,0]
	v_fma_mix_f32 v14, v89, v33, v14 op_sel:[0,1,0] op_sel_hi:[1,1,0]
	;; [unrolled: 2-line block ×4, first 2 shown]
	ds_read_b128 v[32:35], v27 offset:1536
	v_fma_mixlo_f16 v14, v14, v19, 0 op_sel:[0,1,0] op_sel_hi:[0,1,0]
	v_add_f16_sdwa v79, v63, v14 dst_sel:DWORD dst_unused:UNUSED_PAD src0_sel:WORD_1 src1_sel:DWORD
	s_waitcnt lgkmcnt(0)
	v_fma_mix_f32 v14, v38, v32, 0 op_sel_hi:[1,1,0]
	v_fma_mix_f32 v14, v39, v32, v14 op_sel:[0,1,0] op_sel_hi:[1,1,0]
	v_fma_mix_f32 v14, v40, v33, v14 op_sel_hi:[1,1,0]
	v_fma_mix_f32 v14, v41, v33, v14 op_sel:[0,1,0] op_sel_hi:[1,1,0]
	;; [unrolled: 2-line block ×4, first 2 shown]
	v_fma_mixlo_f16 v14, v14, v18, 0 op_sel_hi:[0,1,0]
	v_add_f16_e32 v39, v36, v14
	v_fma_mix_f32 v14, v46, v32, 0 op_sel_hi:[1,1,0]
	v_fma_mix_f32 v14, v47, v32, v14 op_sel:[0,1,0] op_sel_hi:[1,1,0]
	v_fma_mix_f32 v14, v48, v33, v14 op_sel_hi:[1,1,0]
	v_fma_mix_f32 v14, v49, v33, v14 op_sel:[0,1,0] op_sel_hi:[1,1,0]
	;; [unrolled: 2-line block ×4, first 2 shown]
	v_fma_mixlo_f16 v14, v14, v18, 0 op_sel:[0,1,0] op_sel_hi:[0,1,0]
	v_add_f16_sdwa v20, v36, v14 dst_sel:DWORD dst_unused:UNUSED_PAD src0_sel:WORD_1 src1_sel:DWORD
	v_fma_mix_f32 v14, v54, v32, 0 op_sel_hi:[1,1,0]
	v_fma_mix_f32 v14, v55, v32, v14 op_sel:[0,1,0] op_sel_hi:[1,1,0]
	v_fma_mix_f32 v14, v56, v33, v14 op_sel_hi:[1,1,0]
	v_fma_mix_f32 v14, v57, v33, v14 op_sel:[0,1,0] op_sel_hi:[1,1,0]
	;; [unrolled: 2-line block ×4, first 2 shown]
	v_fma_mixlo_f16 v14, v14, v19, 0 op_sel_hi:[0,1,0]
	v_add_f16_e32 v15, v37, v14
	v_fma_mix_f32 v14, v66, v32, 0 op_sel_hi:[1,1,0]
	v_fma_mix_f32 v14, v67, v32, v14 op_sel:[0,1,0] op_sel_hi:[1,1,0]
	v_fma_mix_f32 v14, v88, v33, v14 op_sel_hi:[1,1,0]
	v_fma_mix_f32 v14, v89, v33, v14 op_sel:[0,1,0] op_sel_hi:[1,1,0]
	;; [unrolled: 2-line block ×4, first 2 shown]
	global_load_dwordx4 v[32:35], v[12:13], off
	v_add_co_u32 v12, vcc_lo, v12, s2
	v_add_co_ci_u32_e64 v13, null, s3, v13, vcc_lo
	v_fma_mixlo_f16 v14, v14, v19, 0 op_sel:[0,1,0] op_sel_hi:[0,1,0]
	global_load_dwordx4 v[88:91], v[12:13], off
	v_add_f16_sdwa v14, v37, v14 dst_sel:DWORD dst_unused:UNUSED_PAD src0_sel:WORD_1 src1_sel:DWORD
	s_waitcnt vmcnt(1)
	v_sub_nc_u32_sdwa v21, v32, v31 dst_sel:DWORD dst_unused:UNUSED_PAD src0_sel:BYTE_0 src1_sel:DWORD
	v_cvt_f32_i32_e32 v21, v21
	v_cvt_f16_f32_e32 v57, v21
	v_sub_nc_u32_sdwa v21, v32, v31 dst_sel:DWORD dst_unused:UNUSED_PAD src0_sel:BYTE_1 src1_sel:DWORD
	v_cvt_f32_i32_e32 v21, v21
	v_cvt_f16_f32_e32 v59, v21
	v_sub_nc_u32_sdwa v21, v32, v31 dst_sel:DWORD dst_unused:UNUSED_PAD src0_sel:BYTE_2 src1_sel:DWORD
	v_cvt_f32_i32_e32 v21, v21
	v_cvt_f16_f32_e32 v61, v21
	v_sub_nc_u32_sdwa v21, v32, v31 dst_sel:DWORD dst_unused:UNUSED_PAD src0_sel:BYTE_3 src1_sel:DWORD
	v_fma_mix_f32 v32, v57, v8, 0 op_sel_hi:[1,1,0]
	v_cvt_f32_i32_e32 v21, v21
	v_fma_mix_f32 v32, v59, v8, v32 op_sel:[0,1,0] op_sel_hi:[1,1,0]
	v_cvt_f16_f32_e32 v63, v21
	s_waitcnt vmcnt(0)
	v_sub_nc_u32_sdwa v21, v88, v31 dst_sel:DWORD dst_unused:UNUSED_PAD src0_sel:BYTE_0 src1_sel:DWORD
	v_fma_mix_f32 v32, v61, v9, v32 op_sel_hi:[1,1,0]
	v_cvt_f32_i32_e32 v21, v21
	v_fma_mix_f32 v32, v63, v9, v32 op_sel:[0,1,0] op_sel_hi:[1,1,0]
	v_cvt_f16_f32_e32 v64, v21
	v_sub_nc_u32_sdwa v21, v88, v31 dst_sel:DWORD dst_unused:UNUSED_PAD src0_sel:BYTE_1 src1_sel:DWORD
	v_fma_mix_f32 v32, v64, v10, v32 op_sel_hi:[1,1,0]
	v_cvt_f32_i32_e32 v21, v21
	v_cvt_f16_f32_e32 v65, v21
	v_sub_nc_u32_sdwa v21, v88, v31 dst_sel:DWORD dst_unused:UNUSED_PAD src0_sel:BYTE_2 src1_sel:DWORD
	v_fma_mix_f32 v32, v65, v10, v32 op_sel:[0,1,0] op_sel_hi:[1,1,0]
	v_cvt_f32_i32_e32 v21, v21
	v_cvt_f16_f32_e32 v66, v21
	v_sub_nc_u32_sdwa v21, v88, v31 dst_sel:DWORD dst_unused:UNUSED_PAD src0_sel:BYTE_3 src1_sel:DWORD
	v_fma_mix_f32 v32, v66, v11, v32 op_sel_hi:[1,1,0]
	v_cvt_f32_i32_e32 v21, v21
	v_cvt_f16_f32_e32 v67, v21
	v_sub_nc_u32_sdwa v21, v33, v30 dst_sel:DWORD dst_unused:UNUSED_PAD src0_sel:BYTE_0 src1_sel:DWORD
	v_fma_mix_f32 v32, v67, v11, v32 op_sel:[0,1,0] op_sel_hi:[1,1,0]
	v_cvt_f32_i32_e32 v21, v21
	v_fma_mixlo_f16 v32, v32, v18, 0 op_sel_hi:[0,1,0]
	v_cvt_f16_f32_e32 v49, v21
	v_sub_nc_u32_sdwa v21, v33, v30 dst_sel:DWORD dst_unused:UNUSED_PAD src0_sel:BYTE_1 src1_sel:DWORD
	v_cvt_f32_i32_e32 v21, v21
	v_cvt_f16_f32_e32 v51, v21
	v_sub_nc_u32_sdwa v21, v33, v30 dst_sel:DWORD dst_unused:UNUSED_PAD src0_sel:BYTE_2 src1_sel:DWORD
	v_cvt_f32_i32_e32 v21, v21
	v_cvt_f16_f32_e32 v53, v21
	v_sub_nc_u32_sdwa v21, v33, v30 dst_sel:DWORD dst_unused:UNUSED_PAD src0_sel:BYTE_3 src1_sel:DWORD
	v_cvt_f32_i32_e32 v21, v21
	v_cvt_f16_f32_e32 v55, v21
	v_sub_nc_u32_sdwa v21, v89, v30 dst_sel:DWORD dst_unused:UNUSED_PAD src0_sel:BYTE_0 src1_sel:DWORD
	v_cvt_f32_i32_e32 v21, v21
	v_cvt_f16_f32_e32 v56, v21
	v_sub_nc_u32_sdwa v21, v89, v30 dst_sel:DWORD dst_unused:UNUSED_PAD src0_sel:BYTE_1 src1_sel:DWORD
	v_cvt_f32_i32_e32 v21, v21
	v_cvt_f16_f32_e32 v58, v21
	v_sub_nc_u32_sdwa v21, v89, v30 dst_sel:DWORD dst_unused:UNUSED_PAD src0_sel:BYTE_2 src1_sel:DWORD
	v_cvt_f32_i32_e32 v21, v21
	v_cvt_f16_f32_e32 v60, v21
	v_sub_nc_u32_sdwa v21, v89, v30 dst_sel:DWORD dst_unused:UNUSED_PAD src0_sel:BYTE_3 src1_sel:DWORD
	v_cvt_f32_i32_e32 v21, v21
	v_cvt_f16_f32_e32 v62, v21
	v_sub_nc_u32_sdwa v21, v34, v29 dst_sel:DWORD dst_unused:UNUSED_PAD src0_sel:BYTE_0 src1_sel:DWORD
	v_cvt_f32_i32_e32 v21, v21
	;; [unrolled: 12-line block ×4, first 2 shown]
	v_cvt_f16_f32_e32 v42, v21
	v_sub_nc_u32_sdwa v21, v35, v28 dst_sel:DWORD dst_unused:UNUSED_PAD src0_sel:BYTE_1 src1_sel:DWORD
	v_cvt_f32_i32_e32 v21, v21
	v_cvt_f16_f32_e32 v43, v21
	v_sub_nc_u32_sdwa v21, v35, v28 dst_sel:DWORD dst_unused:UNUSED_PAD src0_sel:BYTE_2 src1_sel:DWORD
	v_cvt_f32_i32_e32 v21, v21
	v_cvt_f16_f32_e32 v41, v21
	v_sub_nc_u32_sdwa v21, v35, v28 dst_sel:DWORD dst_unused:UNUSED_PAD src0_sel:BYTE_3 src1_sel:DWORD
	v_add_f16_e32 v35, v93, v32
	v_fma_mix_f32 v32, v49, v8, 0 op_sel_hi:[1,1,0]
	v_cvt_f32_i32_e32 v21, v21
	v_fma_mix_f32 v32, v51, v8, v32 op_sel:[0,1,0] op_sel_hi:[1,1,0]
	v_cvt_f16_f32_e32 v40, v21
	v_sub_nc_u32_sdwa v21, v91, v28 dst_sel:DWORD dst_unused:UNUSED_PAD src0_sel:BYTE_0 src1_sel:DWORD
	v_fma_mix_f32 v32, v53, v9, v32 op_sel_hi:[1,1,0]
	v_cvt_f32_i32_e32 v21, v21
	v_fma_mix_f32 v32, v55, v9, v32 op_sel:[0,1,0] op_sel_hi:[1,1,0]
	v_cvt_f16_f32_e32 v38, v21
	v_fma_mix_f32 v32, v56, v10, v32 op_sel_hi:[1,1,0]
	v_sub_nc_u32_sdwa v21, v91, v28 dst_sel:DWORD dst_unused:UNUSED_PAD src0_sel:BYTE_1 src1_sel:DWORD
	v_fma_mix_f32 v32, v58, v10, v32 op_sel:[0,1,0] op_sel_hi:[1,1,0]
	v_cvt_f32_i32_e32 v21, v21
	v_fma_mix_f32 v32, v60, v11, v32 op_sel_hi:[1,1,0]
	v_cvt_f16_f32_e32 v37, v21
	v_sub_nc_u32_sdwa v21, v91, v28 dst_sel:DWORD dst_unused:UNUSED_PAD src0_sel:BYTE_2 src1_sel:DWORD
	v_fma_mix_f32 v32, v62, v11, v32 op_sel:[0,1,0] op_sel_hi:[1,1,0]
	v_cvt_f32_i32_e32 v21, v21
	v_fma_mixlo_f16 v32, v32, v18, 0 op_sel:[0,1,0] op_sel_hi:[0,1,0]
	v_cvt_f16_f32_e32 v36, v21
	v_sub_nc_u32_sdwa v21, v91, v28 dst_sel:DWORD dst_unused:UNUSED_PAD src0_sel:BYTE_3 src1_sel:DWORD
	v_add_f16_e32 v34, v95, v32
	v_fma_mix_f32 v32, v44, v8, 0 op_sel_hi:[1,1,0]
	v_cvt_f32_i32_e32 v21, v21
	v_fma_mix_f32 v32, v45, v8, v32 op_sel:[0,1,0] op_sel_hi:[1,1,0]
	v_cvt_f16_f32_e32 v21, v21
	v_fma_mix_f32 v32, v46, v9, v32 op_sel_hi:[1,1,0]
	v_fma_mix_f32 v32, v47, v9, v32 op_sel:[0,1,0] op_sel_hi:[1,1,0]
	v_fma_mix_f32 v32, v48, v10, v32 op_sel_hi:[1,1,0]
	v_fma_mix_f32 v32, v50, v10, v32 op_sel:[0,1,0] op_sel_hi:[1,1,0]
	v_fma_mix_f32 v32, v52, v11, v32 op_sel_hi:[1,1,0]
	v_fma_mix_f32 v32, v54, v11, v32 op_sel:[0,1,0] op_sel_hi:[1,1,0]
	v_fma_mixlo_f16 v32, v32, v19, 0 op_sel_hi:[0,1,0]
	v_add_f16_e32 v33, v96, v32
	v_fma_mix_f32 v32, v42, v8, 0 op_sel_hi:[1,1,0]
	v_fma_mix_f32 v8, v43, v8, v32 op_sel:[0,1,0] op_sel_hi:[1,1,0]
	v_fma_mix_f32 v8, v41, v9, v8 op_sel_hi:[1,1,0]
	v_fma_mix_f32 v8, v40, v9, v8 op_sel:[0,1,0] op_sel_hi:[1,1,0]
	v_fma_mix_f32 v8, v38, v10, v8 op_sel_hi:[1,1,0]
	v_fma_mix_f32 v8, v37, v10, v8 op_sel:[0,1,0] op_sel_hi:[1,1,0]
	v_fma_mix_f32 v8, v36, v11, v8 op_sel_hi:[1,1,0]
	v_fma_mix_f32 v8, v21, v11, v8 op_sel:[0,1,0] op_sel_hi:[1,1,0]
	v_fma_mixlo_f16 v8, v8, v19, 0 op_sel:[0,1,0] op_sel_hi:[0,1,0]
	v_add_f16_e32 v32, v97, v8
	ds_read_b128 v[8:11], v27 offset:272
	s_waitcnt lgkmcnt(0)
	v_fma_mix_f32 v88, v57, v8, 0 op_sel_hi:[1,1,0]
	v_fma_mix_f32 v88, v59, v8, v88 op_sel:[0,1,0] op_sel_hi:[1,1,0]
	v_fma_mix_f32 v88, v61, v9, v88 op_sel_hi:[1,1,0]
	v_fma_mix_f32 v88, v63, v9, v88 op_sel:[0,1,0] op_sel_hi:[1,1,0]
	v_fma_mix_f32 v88, v64, v10, v88 op_sel_hi:[1,1,0]
	v_fma_mix_f32 v88, v65, v10, v88 op_sel:[0,1,0] op_sel_hi:[1,1,0]
	v_fma_mix_f32 v88, v66, v11, v88 op_sel_hi:[1,1,0]
	v_fma_mix_f32 v88, v67, v11, v88 op_sel:[0,1,0] op_sel_hi:[1,1,0]
	v_fma_mixlo_f16 v88, v88, v18, 0 op_sel_hi:[0,1,0]
	v_add_f16_e32 v68, v68, v88
	v_fma_mix_f32 v88, v49, v8, 0 op_sel_hi:[1,1,0]
	v_fma_mix_f32 v88, v51, v8, v88 op_sel:[0,1,0] op_sel_hi:[1,1,0]
	v_fma_mix_f32 v88, v53, v9, v88 op_sel_hi:[1,1,0]
	v_fma_mix_f32 v88, v55, v9, v88 op_sel:[0,1,0] op_sel_hi:[1,1,0]
	v_fma_mix_f32 v88, v56, v10, v88 op_sel_hi:[1,1,0]
	v_fma_mix_f32 v88, v58, v10, v88 op_sel:[0,1,0] op_sel_hi:[1,1,0]
	v_fma_mix_f32 v88, v60, v11, v88 op_sel_hi:[1,1,0]
	v_fma_mix_f32 v88, v62, v11, v88 op_sel:[0,1,0] op_sel_hi:[1,1,0]
	v_fma_mixlo_f16 v88, v88, v18, 0 op_sel:[0,1,0] op_sel_hi:[0,1,0]
	v_add_f16_e32 v69, v69, v88
	v_fma_mix_f32 v88, v44, v8, 0 op_sel_hi:[1,1,0]
	v_fma_mix_f32 v88, v45, v8, v88 op_sel:[0,1,0] op_sel_hi:[1,1,0]
	v_fma_mix_f32 v88, v46, v9, v88 op_sel_hi:[1,1,0]
	v_fma_mix_f32 v88, v47, v9, v88 op_sel:[0,1,0] op_sel_hi:[1,1,0]
	v_fma_mix_f32 v88, v48, v10, v88 op_sel_hi:[1,1,0]
	v_fma_mix_f32 v88, v50, v10, v88 op_sel:[0,1,0] op_sel_hi:[1,1,0]
	v_fma_mix_f32 v88, v52, v11, v88 op_sel_hi:[1,1,0]
	v_fma_mix_f32 v88, v54, v11, v88 op_sel:[0,1,0] op_sel_hi:[1,1,0]
	v_fma_mixlo_f16 v88, v88, v19, 0 op_sel_hi:[0,1,0]
	v_add_f16_e32 v70, v70, v88
	v_fma_mix_f32 v88, v42, v8, 0 op_sel_hi:[1,1,0]
	v_fma_mix_f32 v8, v43, v8, v88 op_sel:[0,1,0] op_sel_hi:[1,1,0]
	v_fma_mix_f32 v8, v41, v9, v8 op_sel_hi:[1,1,0]
	v_fma_mix_f32 v8, v40, v9, v8 op_sel:[0,1,0] op_sel_hi:[1,1,0]
	v_fma_mix_f32 v8, v38, v10, v8 op_sel_hi:[1,1,0]
	v_fma_mix_f32 v8, v37, v10, v8 op_sel:[0,1,0] op_sel_hi:[1,1,0]
	v_fma_mix_f32 v8, v36, v11, v8 op_sel_hi:[1,1,0]
	v_fma_mix_f32 v8, v21, v11, v8 op_sel:[0,1,0] op_sel_hi:[1,1,0]
	v_fma_mixlo_f16 v8, v8, v19, 0 op_sel:[0,1,0] op_sel_hi:[0,1,0]
	v_add_f16_e32 v71, v71, v8
	ds_read_b128 v[8:11], v27 offset:528
	s_waitcnt lgkmcnt(0)
	v_fma_mix_f32 v88, v57, v8, 0 op_sel_hi:[1,1,0]
	v_fma_mix_f32 v88, v59, v8, v88 op_sel:[0,1,0] op_sel_hi:[1,1,0]
	v_fma_mix_f32 v88, v61, v9, v88 op_sel_hi:[1,1,0]
	v_fma_mix_f32 v88, v63, v9, v88 op_sel:[0,1,0] op_sel_hi:[1,1,0]
	v_fma_mix_f32 v88, v64, v10, v88 op_sel_hi:[1,1,0]
	v_fma_mix_f32 v88, v65, v10, v88 op_sel:[0,1,0] op_sel_hi:[1,1,0]
	v_fma_mix_f32 v88, v66, v11, v88 op_sel_hi:[1,1,0]
	v_fma_mix_f32 v88, v67, v11, v88 op_sel:[0,1,0] op_sel_hi:[1,1,0]
	v_fma_mixlo_f16 v88, v88, v18, 0 op_sel_hi:[0,1,0]
	v_add_f16_e32 v72, v72, v88
	v_fma_mix_f32 v88, v49, v8, 0 op_sel_hi:[1,1,0]
	v_fma_mix_f32 v88, v51, v8, v88 op_sel:[0,1,0] op_sel_hi:[1,1,0]
	v_fma_mix_f32 v88, v53, v9, v88 op_sel_hi:[1,1,0]
	v_fma_mix_f32 v88, v55, v9, v88 op_sel:[0,1,0] op_sel_hi:[1,1,0]
	v_fma_mix_f32 v88, v56, v10, v88 op_sel_hi:[1,1,0]
	v_fma_mix_f32 v88, v58, v10, v88 op_sel:[0,1,0] op_sel_hi:[1,1,0]
	v_fma_mix_f32 v88, v60, v11, v88 op_sel_hi:[1,1,0]
	v_fma_mix_f32 v88, v62, v11, v88 op_sel:[0,1,0] op_sel_hi:[1,1,0]
	v_fma_mixlo_f16 v88, v88, v18, 0 op_sel:[0,1,0] op_sel_hi:[0,1,0]
	v_add_f16_e32 v73, v73, v88
	v_fma_mix_f32 v88, v44, v8, 0 op_sel_hi:[1,1,0]
	v_fma_mix_f32 v88, v45, v8, v88 op_sel:[0,1,0] op_sel_hi:[1,1,0]
	;; [unrolled: 42-line block ×5, first 2 shown]
	v_fma_mix_f32 v88, v46, v9, v88 op_sel_hi:[1,1,0]
	v_fma_mix_f32 v88, v47, v9, v88 op_sel:[0,1,0] op_sel_hi:[1,1,0]
	v_fma_mix_f32 v88, v48, v10, v88 op_sel_hi:[1,1,0]
	v_fma_mix_f32 v88, v50, v10, v88 op_sel:[0,1,0] op_sel_hi:[1,1,0]
	;; [unrolled: 2-line block ×3, first 2 shown]
	v_fma_mixlo_f16 v88, v88, v19, 0 op_sel_hi:[0,1,0]
	v_add_f16_e32 v78, v78, v88
	v_fma_mix_f32 v88, v42, v8, 0 op_sel_hi:[1,1,0]
	v_fma_mix_f32 v8, v43, v8, v88 op_sel:[0,1,0] op_sel_hi:[1,1,0]
	v_fma_mix_f32 v8, v41, v9, v8 op_sel_hi:[1,1,0]
	v_fma_mix_f32 v8, v40, v9, v8 op_sel:[0,1,0] op_sel_hi:[1,1,0]
	;; [unrolled: 2-line block ×4, first 2 shown]
	v_fma_mixlo_f16 v8, v8, v19, 0 op_sel:[0,1,0] op_sel_hi:[0,1,0]
	v_add_f16_e32 v79, v79, v8
	ds_read_b128 v[8:11], v27 offset:1552
	s_waitcnt lgkmcnt(0)
	v_fma_mix_f32 v49, v49, v8, 0 op_sel_hi:[1,1,0]
	v_fma_mix_f32 v57, v57, v8, 0 op_sel_hi:[1,1,0]
	v_fma_mix_f32 v49, v51, v8, v49 op_sel:[0,1,0] op_sel_hi:[1,1,0]
	v_fma_mix_f32 v57, v59, v8, v57 op_sel:[0,1,0] op_sel_hi:[1,1,0]
	v_fma_mix_f32 v49, v53, v9, v49 op_sel_hi:[1,1,0]
	v_fma_mix_f32 v57, v61, v9, v57 op_sel_hi:[1,1,0]
	v_fma_mix_f32 v49, v55, v9, v49 op_sel:[0,1,0] op_sel_hi:[1,1,0]
	v_fma_mix_f32 v57, v63, v9, v57 op_sel:[0,1,0] op_sel_hi:[1,1,0]
	;; [unrolled: 4-line block ×4, first 2 shown]
	v_fma_mixlo_f16 v49, v49, v18, 0 op_sel:[0,1,0] op_sel_hi:[0,1,0]
	v_fma_mixlo_f16 v57, v57, v18, 0 op_sel_hi:[0,1,0]
	v_add_f16_e32 v49, v20, v49
	v_fma_mix_f32 v20, v44, v8, 0 op_sel_hi:[1,1,0]
	v_add_f16_e32 v39, v39, v57
	v_fma_mix_f32 v20, v45, v8, v20 op_sel:[0,1,0] op_sel_hi:[1,1,0]
	v_fma_mix_f32 v20, v46, v9, v20 op_sel_hi:[1,1,0]
	v_fma_mix_f32 v20, v47, v9, v20 op_sel:[0,1,0] op_sel_hi:[1,1,0]
	v_fma_mix_f32 v20, v48, v10, v20 op_sel_hi:[1,1,0]
	;; [unrolled: 2-line block ×3, first 2 shown]
	v_fma_mix_f32 v20, v54, v11, v20 op_sel:[0,1,0] op_sel_hi:[1,1,0]
	v_fma_mixlo_f16 v20, v20, v19, 0 op_sel_hi:[0,1,0]
	v_add_f16_e32 v44, v15, v20
	v_fma_mix_f32 v15, v42, v8, 0 op_sel_hi:[1,1,0]
	v_fma_mix_f32 v8, v43, v8, v15 op_sel:[0,1,0] op_sel_hi:[1,1,0]
	v_fma_mix_f32 v8, v41, v9, v8 op_sel_hi:[1,1,0]
	v_fma_mix_f32 v8, v40, v9, v8 op_sel:[0,1,0] op_sel_hi:[1,1,0]
	;; [unrolled: 2-line block ×4, first 2 shown]
	v_fma_mixlo_f16 v8, v8, v19, 0 op_sel:[0,1,0] op_sel_hi:[0,1,0]
	v_add_f16_e32 v37, v14, v8
	v_add_co_u32 v8, vcc_lo, v12, s2
	v_add_co_ci_u32_e64 v9, null, s3, v13, vcc_lo
	v_add_co_u32 v20, vcc_lo, v8, s2
	v_add_co_ci_u32_e64 v21, null, s3, v9, vcc_lo
	s_clause 0x1
	global_load_dwordx4 v[12:15], v[8:9], off
	global_load_dwordx4 v[8:11], v[20:21], off
	s_waitcnt vmcnt(1)
	v_sub_nc_u32_sdwa v36, v12, v31 dst_sel:DWORD dst_unused:UNUSED_PAD src0_sel:BYTE_0 src1_sel:DWORD
	v_sub_nc_u32_sdwa v38, v12, v31 dst_sel:DWORD dst_unused:UNUSED_PAD src0_sel:BYTE_1 src1_sel:DWORD
	v_sub_nc_u32_sdwa v40, v12, v31 dst_sel:DWORD dst_unused:UNUSED_PAD src0_sel:BYTE_2 src1_sel:DWORD
	s_waitcnt vmcnt(0)
	v_sub_nc_u32_sdwa v61, v11, v28 dst_sel:DWORD dst_unused:UNUSED_PAD src0_sel:BYTE_0 src1_sel:DWORD
	v_sub_nc_u32_sdwa v12, v12, v31 dst_sel:DWORD dst_unused:UNUSED_PAD src0_sel:BYTE_3 src1_sel:DWORD
	v_cvt_f32_i32_e32 v36, v36
	v_cvt_f32_i32_e32 v38, v38
	;; [unrolled: 1-line block ×5, first 2 shown]
	v_cvt_f16_f32_e32 v36, v36
	v_cvt_f16_f32_e32 v38, v38
	;; [unrolled: 1-line block ×4, first 2 shown]
	v_sub_nc_u32_sdwa v61, v11, v28 dst_sel:DWORD dst_unused:UNUSED_PAD src0_sel:BYTE_1 src1_sel:DWORD
	v_sub_nc_u32_sdwa v41, v8, v31 dst_sel:DWORD dst_unused:UNUSED_PAD src0_sel:BYTE_0 src1_sel:DWORD
	v_cvt_f16_f32_e32 v12, v12
	v_sub_nc_u32_sdwa v42, v8, v31 dst_sel:DWORD dst_unused:UNUSED_PAD src0_sel:BYTE_1 src1_sel:DWORD
	v_sub_nc_u32_sdwa v43, v8, v31 dst_sel:DWORD dst_unused:UNUSED_PAD src0_sel:BYTE_2 src1_sel:DWORD
	v_cvt_f32_i32_e32 v61, v61
	v_cvt_f32_i32_e32 v41, v41
	v_sub_nc_u32_sdwa v8, v8, v31 dst_sel:DWORD dst_unused:UNUSED_PAD src0_sel:BYTE_3 src1_sel:DWORD
	v_cvt_f32_i32_e32 v42, v42
	v_cvt_f32_i32_e32 v43, v43
	v_cvt_f16_f32_e32 v93, v61
	v_sub_nc_u32_sdwa v61, v11, v28 dst_sel:DWORD dst_unused:UNUSED_PAD src0_sel:BYTE_2 src1_sel:DWORD
	v_sub_nc_u32_sdwa v11, v11, v28 dst_sel:DWORD dst_unused:UNUSED_PAD src0_sel:BYTE_3 src1_sel:DWORD
	v_cvt_f16_f32_e32 v41, v41
	v_cvt_f16_f32_e32 v42, v42
	;; [unrolled: 1-line block ×3, first 2 shown]
	v_cvt_f32_i32_e32 v8, v8
	v_cvt_f32_i32_e32 v11, v11
	v_sub_nc_u32_sdwa v45, v13, v30 dst_sel:DWORD dst_unused:UNUSED_PAD src0_sel:BYTE_0 src1_sel:DWORD
	v_sub_nc_u32_sdwa v46, v13, v30 dst_sel:DWORD dst_unused:UNUSED_PAD src0_sel:BYTE_1 src1_sel:DWORD
	v_sub_nc_u32_sdwa v47, v13, v30 dst_sel:DWORD dst_unused:UNUSED_PAD src0_sel:BYTE_2 src1_sel:DWORD
	v_cvt_f16_f32_e32 v8, v8
	v_cvt_f16_f32_e32 v95, v11
	v_fma_mix_f32 v11, v36, v4, 0 op_sel_hi:[1,1,0]
	v_cvt_f32_i32_e32 v45, v45
	v_cvt_f32_i32_e32 v46, v46
	;; [unrolled: 1-line block ×3, first 2 shown]
	v_sub_nc_u32_sdwa v13, v13, v30 dst_sel:DWORD dst_unused:UNUSED_PAD src0_sel:BYTE_3 src1_sel:DWORD
	v_fma_mix_f32 v11, v38, v4, v11 op_sel:[0,1,0] op_sel_hi:[1,1,0]
	v_cvt_f16_f32_e32 v45, v45
	v_cvt_f16_f32_e32 v46, v46
	;; [unrolled: 1-line block ×3, first 2 shown]
	v_cvt_f32_i32_e32 v13, v13
	v_fma_mix_f32 v11, v40, v5, v11 op_sel_hi:[1,1,0]
	v_sub_nc_u32_sdwa v48, v9, v30 dst_sel:DWORD dst_unused:UNUSED_PAD src0_sel:BYTE_0 src1_sel:DWORD
	v_sub_nc_u32_sdwa v50, v9, v30 dst_sel:DWORD dst_unused:UNUSED_PAD src0_sel:BYTE_1 src1_sel:DWORD
	v_sub_nc_u32_sdwa v51, v9, v30 dst_sel:DWORD dst_unused:UNUSED_PAD src0_sel:BYTE_2 src1_sel:DWORD
	v_cvt_f16_f32_e32 v13, v13
	v_fma_mix_f32 v11, v12, v5, v11 op_sel:[0,1,0] op_sel_hi:[1,1,0]
	v_cvt_f32_i32_e32 v48, v48
	v_cvt_f32_i32_e32 v50, v50
	;; [unrolled: 1-line block ×3, first 2 shown]
	v_sub_nc_u32_sdwa v9, v9, v30 dst_sel:DWORD dst_unused:UNUSED_PAD src0_sel:BYTE_3 src1_sel:DWORD
	v_fma_mix_f32 v11, v41, v6, v11 op_sel_hi:[1,1,0]
	v_cvt_f16_f32_e32 v48, v48
	v_cvt_f16_f32_e32 v50, v50
	;; [unrolled: 1-line block ×3, first 2 shown]
	v_cvt_f32_i32_e32 v9, v9
	v_fma_mix_f32 v11, v42, v6, v11 op_sel:[0,1,0] op_sel_hi:[1,1,0]
	v_sub_nc_u32_sdwa v52, v14, v29 dst_sel:DWORD dst_unused:UNUSED_PAD src0_sel:BYTE_0 src1_sel:DWORD
	v_sub_nc_u32_sdwa v53, v14, v29 dst_sel:DWORD dst_unused:UNUSED_PAD src0_sel:BYTE_1 src1_sel:DWORD
	v_sub_nc_u32_sdwa v54, v14, v29 dst_sel:DWORD dst_unused:UNUSED_PAD src0_sel:BYTE_2 src1_sel:DWORD
	v_cvt_f16_f32_e32 v9, v9
	v_fma_mix_f32 v11, v43, v7, v11 op_sel_hi:[1,1,0]
	v_cvt_f32_i32_e32 v52, v52
	v_cvt_f32_i32_e32 v53, v53
	;; [unrolled: 1-line block ×3, first 2 shown]
	v_sub_nc_u32_sdwa v14, v14, v29 dst_sel:DWORD dst_unused:UNUSED_PAD src0_sel:BYTE_3 src1_sel:DWORD
	v_fma_mix_f32 v11, v8, v7, v11 op_sel:[0,1,0] op_sel_hi:[1,1,0]
	v_cvt_f16_f32_e32 v52, v52
	v_cvt_f16_f32_e32 v53, v53
	;; [unrolled: 1-line block ×3, first 2 shown]
	v_cvt_f32_i32_e32 v14, v14
	v_fma_mixlo_f16 v11, v11, v18, 0 op_sel_hi:[0,1,0]
	v_sub_nc_u32_sdwa v55, v10, v29 dst_sel:DWORD dst_unused:UNUSED_PAD src0_sel:BYTE_0 src1_sel:DWORD
	v_sub_nc_u32_sdwa v56, v10, v29 dst_sel:DWORD dst_unused:UNUSED_PAD src0_sel:BYTE_1 src1_sel:DWORD
	v_sub_nc_u32_sdwa v57, v10, v29 dst_sel:DWORD dst_unused:UNUSED_PAD src0_sel:BYTE_2 src1_sel:DWORD
	v_cvt_f16_f32_e32 v14, v14
	v_add_f16_e32 v96, v35, v11
	v_fma_mix_f32 v11, v45, v4, 0 op_sel_hi:[1,1,0]
	v_cvt_f32_i32_e32 v55, v55
	v_cvt_f32_i32_e32 v56, v56
	;; [unrolled: 1-line block ×3, first 2 shown]
	v_sub_nc_u32_sdwa v10, v10, v29 dst_sel:DWORD dst_unused:UNUSED_PAD src0_sel:BYTE_3 src1_sel:DWORD
	v_fma_mix_f32 v11, v46, v4, v11 op_sel:[0,1,0] op_sel_hi:[1,1,0]
	v_cvt_f16_f32_e32 v55, v55
	v_cvt_f16_f32_e32 v56, v56
	;; [unrolled: 1-line block ×3, first 2 shown]
	v_cvt_f32_i32_e32 v10, v10
	v_fma_mix_f32 v11, v47, v5, v11 op_sel_hi:[1,1,0]
	v_sub_nc_u32_sdwa v58, v15, v28 dst_sel:DWORD dst_unused:UNUSED_PAD src0_sel:BYTE_0 src1_sel:DWORD
	v_sub_nc_u32_sdwa v59, v15, v28 dst_sel:DWORD dst_unused:UNUSED_PAD src0_sel:BYTE_1 src1_sel:DWORD
	v_sub_nc_u32_sdwa v60, v15, v28 dst_sel:DWORD dst_unused:UNUSED_PAD src0_sel:BYTE_2 src1_sel:DWORD
	v_cvt_f16_f32_e32 v10, v10
	v_fma_mix_f32 v11, v13, v5, v11 op_sel:[0,1,0] op_sel_hi:[1,1,0]
	v_cvt_f32_i32_e32 v58, v58
	v_cvt_f32_i32_e32 v59, v59
	;; [unrolled: 1-line block ×3, first 2 shown]
	v_sub_nc_u32_sdwa v15, v15, v28 dst_sel:DWORD dst_unused:UNUSED_PAD src0_sel:BYTE_3 src1_sel:DWORD
	v_fma_mix_f32 v11, v48, v6, v11 op_sel_hi:[1,1,0]
	v_cvt_f16_f32_e32 v58, v58
	v_cvt_f16_f32_e32 v59, v59
	;; [unrolled: 1-line block ×3, first 2 shown]
	v_cvt_f32_i32_e32 v15, v15
	v_fma_mix_f32 v11, v50, v6, v11 op_sel:[0,1,0] op_sel_hi:[1,1,0]
	v_cvt_f32_i32_e32 v61, v61
	v_cvt_f16_f32_e32 v15, v15
	v_fma_mix_f32 v11, v51, v7, v11 op_sel_hi:[1,1,0]
	v_cvt_f16_f32_e32 v94, v61
	v_fma_mix_f32 v11, v9, v7, v11 op_sel:[0,1,0] op_sel_hi:[1,1,0]
	v_fma_mixlo_f16 v11, v11, v18, 0 op_sel:[0,1,0] op_sel_hi:[0,1,0]
	v_add_f16_e32 v97, v34, v11
	v_fma_mix_f32 v11, v52, v4, 0 op_sel_hi:[1,1,0]
	v_fma_mix_f32 v11, v53, v4, v11 op_sel:[0,1,0] op_sel_hi:[1,1,0]
	v_fma_mix_f32 v11, v54, v5, v11 op_sel_hi:[1,1,0]
	v_fma_mix_f32 v11, v14, v5, v11 op_sel:[0,1,0] op_sel_hi:[1,1,0]
	v_fma_mix_f32 v11, v55, v6, v11 op_sel_hi:[1,1,0]
	v_fma_mix_f32 v11, v56, v6, v11 op_sel:[0,1,0] op_sel_hi:[1,1,0]
	v_fma_mix_f32 v11, v57, v7, v11 op_sel_hi:[1,1,0]
	v_fma_mix_f32 v11, v10, v7, v11 op_sel:[0,1,0] op_sel_hi:[1,1,0]
	v_fma_mixlo_f16 v11, v11, v19, 0 op_sel_hi:[0,1,0]
	v_add_f16_e32 v98, v33, v11
	v_fma_mix_f32 v11, v58, v4, 0 op_sel_hi:[1,1,0]
	v_fma_mix_f32 v4, v59, v4, v11 op_sel:[0,1,0] op_sel_hi:[1,1,0]
	v_fma_mix_f32 v4, v60, v5, v4 op_sel_hi:[1,1,0]
	v_fma_mix_f32 v4, v15, v5, v4 op_sel:[0,1,0] op_sel_hi:[1,1,0]
	v_fma_mix_f32 v4, v92, v6, v4 op_sel_hi:[1,1,0]
	v_fma_mix_f32 v4, v93, v6, v4 op_sel:[0,1,0] op_sel_hi:[1,1,0]
	v_fma_mix_f32 v4, v94, v7, v4 op_sel_hi:[1,1,0]
	v_fma_mix_f32 v4, v95, v7, v4 op_sel:[0,1,0] op_sel_hi:[1,1,0]
	v_fma_mixlo_f16 v4, v4, v19, 0 op_sel:[0,1,0] op_sel_hi:[0,1,0]
	v_add_f16_e32 v99, v32, v4
	ds_read_b128 v[4:7], v27 offset:288
	s_waitcnt lgkmcnt(0)
	v_fma_mix_f32 v11, v36, v4, 0 op_sel_hi:[1,1,0]
	v_fma_mix_f32 v11, v38, v4, v11 op_sel:[0,1,0] op_sel_hi:[1,1,0]
	v_fma_mix_f32 v11, v40, v5, v11 op_sel_hi:[1,1,0]
	v_fma_mix_f32 v11, v12, v5, v11 op_sel:[0,1,0] op_sel_hi:[1,1,0]
	v_fma_mix_f32 v11, v41, v6, v11 op_sel_hi:[1,1,0]
	v_fma_mix_f32 v11, v42, v6, v11 op_sel:[0,1,0] op_sel_hi:[1,1,0]
	v_fma_mix_f32 v11, v43, v7, v11 op_sel_hi:[1,1,0]
	v_fma_mix_f32 v11, v8, v7, v11 op_sel:[0,1,0] op_sel_hi:[1,1,0]
	v_fma_mixlo_f16 v11, v11, v18, 0 op_sel_hi:[0,1,0]
	v_add_f16_e32 v90, v68, v11
	v_fma_mix_f32 v11, v45, v4, 0 op_sel_hi:[1,1,0]
	v_fma_mix_f32 v11, v46, v4, v11 op_sel:[0,1,0] op_sel_hi:[1,1,0]
	v_fma_mix_f32 v11, v47, v5, v11 op_sel_hi:[1,1,0]
	v_fma_mix_f32 v11, v13, v5, v11 op_sel:[0,1,0] op_sel_hi:[1,1,0]
	v_fma_mix_f32 v11, v48, v6, v11 op_sel_hi:[1,1,0]
	v_fma_mix_f32 v11, v50, v6, v11 op_sel:[0,1,0] op_sel_hi:[1,1,0]
	v_fma_mix_f32 v11, v51, v7, v11 op_sel_hi:[1,1,0]
	v_fma_mix_f32 v11, v9, v7, v11 op_sel:[0,1,0] op_sel_hi:[1,1,0]
	v_fma_mixlo_f16 v11, v11, v18, 0 op_sel:[0,1,0] op_sel_hi:[0,1,0]
	v_add_f16_e32 v91, v69, v11
	v_fma_mix_f32 v11, v52, v4, 0 op_sel_hi:[1,1,0]
	v_fma_mix_f32 v11, v53, v4, v11 op_sel:[0,1,0] op_sel_hi:[1,1,0]
	v_fma_mix_f32 v11, v54, v5, v11 op_sel_hi:[1,1,0]
	v_fma_mix_f32 v11, v14, v5, v11 op_sel:[0,1,0] op_sel_hi:[1,1,0]
	v_fma_mix_f32 v11, v55, v6, v11 op_sel_hi:[1,1,0]
	v_fma_mix_f32 v11, v56, v6, v11 op_sel:[0,1,0] op_sel_hi:[1,1,0]
	v_fma_mix_f32 v11, v57, v7, v11 op_sel_hi:[1,1,0]
	v_fma_mix_f32 v11, v10, v7, v11 op_sel:[0,1,0] op_sel_hi:[1,1,0]
	v_fma_mixlo_f16 v11, v11, v19, 0 op_sel_hi:[0,1,0]
	v_add_f16_e32 v88, v70, v11
	v_fma_mix_f32 v11, v58, v4, 0 op_sel_hi:[1,1,0]
	v_fma_mix_f32 v4, v59, v4, v11 op_sel:[0,1,0] op_sel_hi:[1,1,0]
	v_fma_mix_f32 v4, v60, v5, v4 op_sel_hi:[1,1,0]
	v_fma_mix_f32 v4, v15, v5, v4 op_sel:[0,1,0] op_sel_hi:[1,1,0]
	v_fma_mix_f32 v4, v92, v6, v4 op_sel_hi:[1,1,0]
	v_fma_mix_f32 v4, v93, v6, v4 op_sel:[0,1,0] op_sel_hi:[1,1,0]
	v_fma_mix_f32 v4, v94, v7, v4 op_sel_hi:[1,1,0]
	v_fma_mix_f32 v4, v95, v7, v4 op_sel:[0,1,0] op_sel_hi:[1,1,0]
	v_fma_mixlo_f16 v4, v4, v19, 0 op_sel:[0,1,0] op_sel_hi:[0,1,0]
	v_add_f16_e32 v89, v71, v4
	ds_read_b128 v[4:7], v27 offset:544
	s_waitcnt lgkmcnt(0)
	v_fma_mix_f32 v11, v36, v4, 0 op_sel_hi:[1,1,0]
	v_fma_mix_f32 v11, v38, v4, v11 op_sel:[0,1,0] op_sel_hi:[1,1,0]
	v_fma_mix_f32 v11, v40, v5, v11 op_sel_hi:[1,1,0]
	v_fma_mix_f32 v11, v12, v5, v11 op_sel:[0,1,0] op_sel_hi:[1,1,0]
	v_fma_mix_f32 v11, v41, v6, v11 op_sel_hi:[1,1,0]
	v_fma_mix_f32 v11, v42, v6, v11 op_sel:[0,1,0] op_sel_hi:[1,1,0]
	v_fma_mix_f32 v11, v43, v7, v11 op_sel_hi:[1,1,0]
	v_fma_mix_f32 v11, v8, v7, v11 op_sel:[0,1,0] op_sel_hi:[1,1,0]
	v_fma_mixlo_f16 v11, v11, v18, 0 op_sel_hi:[0,1,0]
	v_add_f16_e32 v33, v72, v11
	v_fma_mix_f32 v11, v45, v4, 0 op_sel_hi:[1,1,0]
	v_fma_mix_f32 v11, v46, v4, v11 op_sel:[0,1,0] op_sel_hi:[1,1,0]
	v_fma_mix_f32 v11, v47, v5, v11 op_sel_hi:[1,1,0]
	v_fma_mix_f32 v11, v13, v5, v11 op_sel:[0,1,0] op_sel_hi:[1,1,0]
	v_fma_mix_f32 v11, v48, v6, v11 op_sel_hi:[1,1,0]
	v_fma_mix_f32 v11, v50, v6, v11 op_sel:[0,1,0] op_sel_hi:[1,1,0]
	v_fma_mix_f32 v11, v51, v7, v11 op_sel_hi:[1,1,0]
	;; [unrolled: 42-line block ×4, first 2 shown]
	v_fma_mix_f32 v11, v9, v7, v11 op_sel:[0,1,0] op_sel_hi:[1,1,0]
	v_fma_mixlo_f16 v11, v11, v18, 0 op_sel:[0,1,0] op_sel_hi:[0,1,0]
	v_add_f16_e32 v68, v85, v11
	v_fma_mix_f32 v11, v52, v4, 0 op_sel_hi:[1,1,0]
	v_fma_mix_f32 v11, v53, v4, v11 op_sel:[0,1,0] op_sel_hi:[1,1,0]
	v_fma_mix_f32 v11, v54, v5, v11 op_sel_hi:[1,1,0]
	v_fma_mix_f32 v11, v14, v5, v11 op_sel:[0,1,0] op_sel_hi:[1,1,0]
	;; [unrolled: 2-line block ×4, first 2 shown]
	v_fma_mixlo_f16 v11, v11, v19, 0 op_sel_hi:[0,1,0]
	v_add_f16_e32 v61, v86, v11
	v_fma_mix_f32 v11, v58, v4, 0 op_sel_hi:[1,1,0]
	v_fma_mix_f32 v4, v59, v4, v11 op_sel:[0,1,0] op_sel_hi:[1,1,0]
	v_fma_mix_f32 v4, v60, v5, v4 op_sel_hi:[1,1,0]
	v_fma_mix_f32 v4, v15, v5, v4 op_sel:[0,1,0] op_sel_hi:[1,1,0]
	v_fma_mix_f32 v4, v92, v6, v4 op_sel_hi:[1,1,0]
	v_fma_mix_f32 v4, v93, v6, v4 op_sel:[0,1,0] op_sel_hi:[1,1,0]
	v_fma_mix_f32 v4, v94, v7, v4 op_sel_hi:[1,1,0]
	v_fma_mix_f32 v4, v95, v7, v4 op_sel:[0,1,0] op_sel_hi:[1,1,0]
	v_fma_mixlo_f16 v4, v4, v19, 0 op_sel:[0,1,0] op_sel_hi:[0,1,0]
	v_add_f16_e32 v67, v87, v4
	ds_read_b128 v[4:7], v27 offset:1312
	s_waitcnt lgkmcnt(0)
	v_fma_mix_f32 v11, v36, v4, 0 op_sel_hi:[1,1,0]
	v_fma_mix_f32 v11, v38, v4, v11 op_sel:[0,1,0] op_sel_hi:[1,1,0]
	v_fma_mix_f32 v11, v40, v5, v11 op_sel_hi:[1,1,0]
	v_fma_mix_f32 v11, v12, v5, v11 op_sel:[0,1,0] op_sel_hi:[1,1,0]
	;; [unrolled: 2-line block ×4, first 2 shown]
	v_fma_mixlo_f16 v11, v11, v18, 0 op_sel_hi:[0,1,0]
	v_add_f16_e32 v64, v76, v11
	v_fma_mix_f32 v11, v45, v4, 0 op_sel_hi:[1,1,0]
	ds_read_b128 v[73:76], v27 offset:1568
	v_fma_mix_f32 v11, v46, v4, v11 op_sel:[0,1,0] op_sel_hi:[1,1,0]
	v_fma_mix_f32 v11, v47, v5, v11 op_sel_hi:[1,1,0]
	v_fma_mix_f32 v11, v13, v5, v11 op_sel:[0,1,0] op_sel_hi:[1,1,0]
	v_fma_mix_f32 v11, v48, v6, v11 op_sel_hi:[1,1,0]
	;; [unrolled: 2-line block ×3, first 2 shown]
	v_fma_mix_f32 v11, v9, v7, v11 op_sel:[0,1,0] op_sel_hi:[1,1,0]
	v_fma_mixlo_f16 v11, v11, v18, 0 op_sel:[0,1,0] op_sel_hi:[0,1,0]
	v_add_f16_e32 v66, v77, v11
	v_fma_mix_f32 v11, v52, v4, 0 op_sel_hi:[1,1,0]
	v_fma_mix_f32 v11, v53, v4, v11 op_sel:[0,1,0] op_sel_hi:[1,1,0]
	v_fma_mix_f32 v11, v54, v5, v11 op_sel_hi:[1,1,0]
	v_fma_mix_f32 v11, v14, v5, v11 op_sel:[0,1,0] op_sel_hi:[1,1,0]
	;; [unrolled: 2-line block ×4, first 2 shown]
	v_fma_mixlo_f16 v11, v11, v19, 0 op_sel_hi:[0,1,0]
	v_add_f16_e32 v63, v78, v11
	v_fma_mix_f32 v11, v58, v4, 0 op_sel_hi:[1,1,0]
	v_fma_mix_f32 v4, v59, v4, v11 op_sel:[0,1,0] op_sel_hi:[1,1,0]
	v_fma_mix_f32 v4, v60, v5, v4 op_sel_hi:[1,1,0]
	v_fma_mix_f32 v4, v15, v5, v4 op_sel:[0,1,0] op_sel_hi:[1,1,0]
	;; [unrolled: 2-line block ×4, first 2 shown]
	v_fma_mixlo_f16 v4, v4, v19, 0 op_sel:[0,1,0] op_sel_hi:[0,1,0]
	v_add_f16_e32 v65, v79, v4
	s_waitcnt lgkmcnt(0)
	v_fma_mix_f32 v4, v36, v73, 0 op_sel_hi:[1,1,0]
	v_fma_mix_f32 v4, v38, v73, v4 op_sel:[0,1,0] op_sel_hi:[1,1,0]
	v_fma_mix_f32 v4, v40, v74, v4 op_sel_hi:[1,1,0]
	v_fma_mix_f32 v4, v12, v74, v4 op_sel:[0,1,0] op_sel_hi:[1,1,0]
	;; [unrolled: 2-line block ×4, first 2 shown]
	v_fma_mixlo_f16 v4, v4, v18, 0 op_sel_hi:[0,1,0]
	v_add_f16_e32 v36, v39, v4
	v_fma_mix_f32 v4, v45, v73, 0 op_sel_hi:[1,1,0]
	v_fma_mix_f32 v4, v46, v73, v4 op_sel:[0,1,0] op_sel_hi:[1,1,0]
	v_fma_mix_f32 v4, v47, v74, v4 op_sel_hi:[1,1,0]
	v_fma_mix_f32 v4, v13, v74, v4 op_sel:[0,1,0] op_sel_hi:[1,1,0]
	;; [unrolled: 2-line block ×4, first 2 shown]
	v_fma_mixlo_f16 v4, v4, v18, 0 op_sel:[0,1,0] op_sel_hi:[0,1,0]
	v_add_f16_e32 v11, v49, v4
	v_fma_mix_f32 v4, v52, v73, 0 op_sel_hi:[1,1,0]
	v_fma_mix_f32 v4, v53, v73, v4 op_sel:[0,1,0] op_sel_hi:[1,1,0]
	v_fma_mix_f32 v4, v54, v74, v4 op_sel_hi:[1,1,0]
	v_fma_mix_f32 v4, v14, v74, v4 op_sel:[0,1,0] op_sel_hi:[1,1,0]
	;; [unrolled: 2-line block ×4, first 2 shown]
	v_fma_mixlo_f16 v4, v4, v19, 0 op_sel_hi:[0,1,0]
	v_add_f16_e32 v7, v44, v4
	v_fma_mix_f32 v4, v58, v73, 0 op_sel_hi:[1,1,0]
	v_fma_mix_f32 v4, v59, v73, v4 op_sel:[0,1,0] op_sel_hi:[1,1,0]
	v_fma_mix_f32 v4, v60, v74, v4 op_sel_hi:[1,1,0]
	v_fma_mix_f32 v4, v15, v74, v4 op_sel:[0,1,0] op_sel_hi:[1,1,0]
	;; [unrolled: 2-line block ×4, first 2 shown]
	v_fma_mixlo_f16 v4, v4, v19, 0 op_sel:[0,1,0] op_sel_hi:[0,1,0]
	v_add_f16_e32 v6, v37, v4
	v_add_co_u32 v4, vcc_lo, v20, s2
	v_add_co_ci_u32_e64 v5, null, s3, v21, vcc_lo
	global_load_dwordx4 v[12:15], v[4:5], off
	v_add_co_u32 v4, vcc_lo, v4, s2
	v_add_co_ci_u32_e64 v5, null, s3, v5, vcc_lo
	global_load_dwordx4 v[73:76], v[4:5], off
	s_waitcnt vmcnt(1)
	v_sub_nc_u32_sdwa v8, v12, v31 dst_sel:DWORD dst_unused:UNUSED_PAD src0_sel:BYTE_0 src1_sel:DWORD
	v_cvt_f32_i32_e32 v8, v8
	v_cvt_f16_f32_e32 v53, v8
	v_sub_nc_u32_sdwa v8, v12, v31 dst_sel:DWORD dst_unused:UNUSED_PAD src0_sel:BYTE_1 src1_sel:DWORD
	v_cvt_f32_i32_e32 v8, v8
	v_cvt_f16_f32_e32 v54, v8
	v_sub_nc_u32_sdwa v8, v12, v31 dst_sel:DWORD dst_unused:UNUSED_PAD src0_sel:BYTE_2 src1_sel:DWORD
	v_cvt_f32_i32_e32 v8, v8
	v_cvt_f16_f32_e32 v55, v8
	v_sub_nc_u32_sdwa v8, v12, v31 dst_sel:DWORD dst_unused:UNUSED_PAD src0_sel:BYTE_3 src1_sel:DWORD
	v_cvt_f32_i32_e32 v8, v8
	v_cvt_f16_f32_e32 v56, v8
	s_waitcnt vmcnt(0)
	v_sub_nc_u32_sdwa v8, v73, v31 dst_sel:DWORD dst_unused:UNUSED_PAD src0_sel:BYTE_0 src1_sel:DWORD
	v_cvt_f32_i32_e32 v8, v8
	v_cvt_f16_f32_e32 v57, v8
	v_sub_nc_u32_sdwa v8, v73, v31 dst_sel:DWORD dst_unused:UNUSED_PAD src0_sel:BYTE_1 src1_sel:DWORD
	v_cvt_f32_i32_e32 v8, v8
	v_cvt_f16_f32_e32 v58, v8
	v_sub_nc_u32_sdwa v8, v73, v31 dst_sel:DWORD dst_unused:UNUSED_PAD src0_sel:BYTE_2 src1_sel:DWORD
	v_cvt_f32_i32_e32 v8, v8
	v_cvt_f16_f32_e32 v59, v8
	v_sub_nc_u32_sdwa v8, v73, v31 dst_sel:DWORD dst_unused:UNUSED_PAD src0_sel:BYTE_3 src1_sel:DWORD
	v_cvt_f32_i32_e32 v8, v8
	v_cvt_f16_f32_e32 v60, v8
	v_sub_nc_u32_sdwa v8, v13, v30 dst_sel:DWORD dst_unused:UNUSED_PAD src0_sel:BYTE_0 src1_sel:DWORD
	v_cvt_f32_i32_e32 v8, v8
	v_cvt_f16_f32_e32 v45, v8
	v_sub_nc_u32_sdwa v8, v13, v30 dst_sel:DWORD dst_unused:UNUSED_PAD src0_sel:BYTE_1 src1_sel:DWORD
	v_cvt_f32_i32_e32 v8, v8
	v_cvt_f16_f32_e32 v46, v8
	v_sub_nc_u32_sdwa v8, v13, v30 dst_sel:DWORD dst_unused:UNUSED_PAD src0_sel:BYTE_2 src1_sel:DWORD
	v_cvt_f32_i32_e32 v8, v8
	v_cvt_f16_f32_e32 v47, v8
	v_sub_nc_u32_sdwa v8, v13, v30 dst_sel:DWORD dst_unused:UNUSED_PAD src0_sel:BYTE_3 src1_sel:DWORD
	v_cvt_f32_i32_e32 v8, v8
	v_cvt_f16_f32_e32 v48, v8
	;; [unrolled: 12-line block ×3, first 2 shown]
	v_sub_nc_u32_sdwa v8, v14, v29 dst_sel:DWORD dst_unused:UNUSED_PAD src0_sel:BYTE_0 src1_sel:DWORD
	v_cvt_f32_i32_e32 v8, v8
	v_cvt_f16_f32_e32 v37, v8
	v_sub_nc_u32_sdwa v8, v14, v29 dst_sel:DWORD dst_unused:UNUSED_PAD src0_sel:BYTE_1 src1_sel:DWORD
	v_cvt_f32_i32_e32 v8, v8
	v_cvt_f16_f32_e32 v38, v8
	v_sub_nc_u32_sdwa v8, v14, v29 dst_sel:DWORD dst_unused:UNUSED_PAD src0_sel:BYTE_2 src1_sel:DWORD
	v_cvt_f32_i32_e32 v8, v8
	v_cvt_f16_f32_e32 v39, v8
	v_sub_nc_u32_sdwa v8, v14, v29 dst_sel:DWORD dst_unused:UNUSED_PAD src0_sel:BYTE_3 src1_sel:DWORD
	v_fma_mix_f32 v14, v53, v0, 0 op_sel_hi:[1,1,0]
	v_cvt_f32_i32_e32 v8, v8
	v_fma_mix_f32 v14, v54, v0, v14 op_sel:[0,1,0] op_sel_hi:[1,1,0]
	v_cvt_f16_f32_e32 v40, v8
	v_sub_nc_u32_sdwa v8, v75, v29 dst_sel:DWORD dst_unused:UNUSED_PAD src0_sel:BYTE_0 src1_sel:DWORD
	v_fma_mix_f32 v14, v55, v1, v14 op_sel_hi:[1,1,0]
	v_cvt_f32_i32_e32 v8, v8
	v_fma_mix_f32 v14, v56, v1, v14 op_sel:[0,1,0] op_sel_hi:[1,1,0]
	v_cvt_f16_f32_e32 v41, v8
	v_sub_nc_u32_sdwa v8, v75, v29 dst_sel:DWORD dst_unused:UNUSED_PAD src0_sel:BYTE_1 src1_sel:DWORD
	v_fma_mix_f32 v14, v57, v2, v14 op_sel_hi:[1,1,0]
	v_cvt_f32_i32_e32 v8, v8
	v_fma_mix_f32 v14, v58, v2, v14 op_sel:[0,1,0] op_sel_hi:[1,1,0]
	v_cvt_f16_f32_e32 v42, v8
	v_sub_nc_u32_sdwa v8, v75, v29 dst_sel:DWORD dst_unused:UNUSED_PAD src0_sel:BYTE_2 src1_sel:DWORD
	v_fma_mix_f32 v14, v59, v3, v14 op_sel_hi:[1,1,0]
	v_cvt_f32_i32_e32 v8, v8
	v_fma_mix_f32 v14, v60, v3, v14 op_sel:[0,1,0] op_sel_hi:[1,1,0]
	v_cvt_f16_f32_e32 v43, v8
	v_sub_nc_u32_sdwa v8, v75, v29 dst_sel:DWORD dst_unused:UNUSED_PAD src0_sel:BYTE_3 src1_sel:DWORD
	v_fma_mixlo_f16 v14, v14, v18, 0 op_sel_hi:[0,1,0]
	v_cvt_f32_i32_e32 v8, v8
	v_add_f16_e32 v14, v96, v14
	v_cvt_f16_f32_e32 v44, v8
	v_sub_nc_u32_sdwa v8, v15, v28 dst_sel:DWORD dst_unused:UNUSED_PAD src0_sel:BYTE_0 src1_sel:DWORD
	v_cvt_f32_i32_e32 v8, v8
	v_cvt_f16_f32_e32 v30, v8
	v_sub_nc_u32_sdwa v8, v15, v28 dst_sel:DWORD dst_unused:UNUSED_PAD src0_sel:BYTE_1 src1_sel:DWORD
	v_fma_mix_f32 v20, v30, v0, 0 op_sel_hi:[1,1,0]
	v_cvt_f32_i32_e32 v8, v8
	v_cvt_f16_f32_e32 v31, v8
	v_sub_nc_u32_sdwa v8, v15, v28 dst_sel:DWORD dst_unused:UNUSED_PAD src0_sel:BYTE_2 src1_sel:DWORD
	v_cvt_f32_i32_e32 v8, v8
	v_cvt_f16_f32_e32 v29, v8
	v_sub_nc_u32_sdwa v8, v15, v28 dst_sel:DWORD dst_unused:UNUSED_PAD src0_sel:BYTE_3 src1_sel:DWORD
	v_fma_mix_f32 v15, v45, v0, 0 op_sel_hi:[1,1,0]
	v_cvt_f32_i32_e32 v8, v8
	v_fma_mix_f32 v15, v46, v0, v15 op_sel:[0,1,0] op_sel_hi:[1,1,0]
	v_cvt_f16_f32_e32 v13, v8
	v_fma_mix_f32 v15, v47, v1, v15 op_sel_hi:[1,1,0]
	v_sub_nc_u32_sdwa v8, v76, v28 dst_sel:DWORD dst_unused:UNUSED_PAD src0_sel:BYTE_0 src1_sel:DWORD
	v_fma_mix_f32 v15, v48, v1, v15 op_sel:[0,1,0] op_sel_hi:[1,1,0]
	v_cvt_f32_i32_e32 v8, v8
	v_fma_mix_f32 v15, v49, v2, v15 op_sel_hi:[1,1,0]
	v_cvt_f16_f32_e32 v12, v8
	v_sub_nc_u32_sdwa v8, v76, v28 dst_sel:DWORD dst_unused:UNUSED_PAD src0_sel:BYTE_1 src1_sel:DWORD
	v_fma_mix_f32 v15, v50, v2, v15 op_sel:[0,1,0] op_sel_hi:[1,1,0]
	v_cvt_f32_i32_e32 v8, v8
	v_fma_mix_f32 v15, v51, v3, v15 op_sel_hi:[1,1,0]
	v_cvt_f16_f32_e32 v10, v8
	v_sub_nc_u32_sdwa v8, v76, v28 dst_sel:DWORD dst_unused:UNUSED_PAD src0_sel:BYTE_2 src1_sel:DWORD
	v_fma_mix_f32 v15, v52, v3, v15 op_sel:[0,1,0] op_sel_hi:[1,1,0]
	v_cvt_f32_i32_e32 v8, v8
	v_fma_mixlo_f16 v15, v15, v18, 0 op_sel:[0,1,0] op_sel_hi:[0,1,0]
	v_cvt_f16_f32_e32 v9, v8
	v_sub_nc_u32_sdwa v8, v76, v28 dst_sel:DWORD dst_unused:UNUSED_PAD src0_sel:BYTE_3 src1_sel:DWORD
	v_add_f16_e32 v15, v97, v15
	v_cvt_f32_i32_e32 v8, v8
	v_pack_b32_f16 v15, v14, v15
	v_fma_mix_f32 v14, v37, v0, 0 op_sel_hi:[1,1,0]
	v_cvt_f16_f32_e32 v8, v8
	v_fma_mix_f32 v14, v38, v0, v14 op_sel:[0,1,0] op_sel_hi:[1,1,0]
	v_fma_mix_f32 v0, v31, v0, v20 op_sel:[0,1,0] op_sel_hi:[1,1,0]
	v_fma_mix_f32 v14, v39, v1, v14 op_sel_hi:[1,1,0]
	v_fma_mix_f32 v0, v29, v1, v0 op_sel_hi:[1,1,0]
	v_fma_mix_f32 v14, v40, v1, v14 op_sel:[0,1,0] op_sel_hi:[1,1,0]
	v_fma_mix_f32 v0, v13, v1, v0 op_sel:[0,1,0] op_sel_hi:[1,1,0]
	v_fma_mix_f32 v14, v41, v2, v14 op_sel_hi:[1,1,0]
	v_fma_mix_f32 v0, v12, v2, v0 op_sel_hi:[1,1,0]
	;; [unrolled: 4-line block ×3, first 2 shown]
	v_fma_mix_f32 v14, v44, v3, v14 op_sel:[0,1,0] op_sel_hi:[1,1,0]
	v_fma_mix_f32 v0, v8, v3, v0 op_sel:[0,1,0] op_sel_hi:[1,1,0]
	v_fma_mixlo_f16 v14, v14, v19, 0 op_sel_hi:[0,1,0]
	v_fma_mixlo_f16 v0, v0, v19, 0 op_sel:[0,1,0] op_sel_hi:[0,1,0]
	v_add_f16_e32 v14, v98, v14
	v_add_f16_e32 v0, v99, v0
	v_pack_b32_f16 v14, v14, v0
	ds_read_b128 v[0:3], v27 offset:304
	s_waitcnt lgkmcnt(0)
	v_fma_mix_f32 v20, v53, v0, 0 op_sel_hi:[1,1,0]
	v_fma_mix_f32 v21, v45, v0, 0 op_sel_hi:[1,1,0]
	v_fma_mix_f32 v28, v30, v0, 0 op_sel_hi:[1,1,0]
	v_fma_mix_f32 v20, v54, v0, v20 op_sel:[0,1,0] op_sel_hi:[1,1,0]
	v_fma_mix_f32 v21, v46, v0, v21 op_sel:[0,1,0] op_sel_hi:[1,1,0]
	v_fma_mix_f32 v20, v55, v1, v20 op_sel_hi:[1,1,0]
	v_fma_mix_f32 v21, v47, v1, v21 op_sel_hi:[1,1,0]
	v_fma_mix_f32 v20, v56, v1, v20 op_sel:[0,1,0] op_sel_hi:[1,1,0]
	v_fma_mix_f32 v21, v48, v1, v21 op_sel:[0,1,0] op_sel_hi:[1,1,0]
	v_fma_mix_f32 v20, v57, v2, v20 op_sel_hi:[1,1,0]
	v_fma_mix_f32 v21, v49, v2, v21 op_sel_hi:[1,1,0]
	;; [unrolled: 4-line block ×3, first 2 shown]
	v_fma_mix_f32 v20, v60, v3, v20 op_sel:[0,1,0] op_sel_hi:[1,1,0]
	v_fma_mix_f32 v21, v52, v3, v21 op_sel:[0,1,0] op_sel_hi:[1,1,0]
	v_fma_mixlo_f16 v20, v20, v18, 0 op_sel_hi:[0,1,0]
	v_fma_mixlo_f16 v21, v21, v18, 0 op_sel:[0,1,0] op_sel_hi:[0,1,0]
	v_add_f16_e32 v20, v90, v20
	v_add_f16_e32 v21, v91, v21
	v_pack_b32_f16 v21, v20, v21
	v_fma_mix_f32 v20, v37, v0, 0 op_sel_hi:[1,1,0]
	v_fma_mix_f32 v20, v38, v0, v20 op_sel:[0,1,0] op_sel_hi:[1,1,0]
	v_fma_mix_f32 v0, v31, v0, v28 op_sel:[0,1,0] op_sel_hi:[1,1,0]
	v_fma_mix_f32 v20, v39, v1, v20 op_sel_hi:[1,1,0]
	v_fma_mix_f32 v0, v29, v1, v0 op_sel_hi:[1,1,0]
	v_fma_mix_f32 v20, v40, v1, v20 op_sel:[0,1,0] op_sel_hi:[1,1,0]
	v_fma_mix_f32 v0, v13, v1, v0 op_sel:[0,1,0] op_sel_hi:[1,1,0]
	v_fma_mix_f32 v20, v41, v2, v20 op_sel_hi:[1,1,0]
	;; [unrolled: 4-line block ×3, first 2 shown]
	v_fma_mix_f32 v0, v9, v3, v0 op_sel_hi:[1,1,0]
	v_fma_mix_f32 v20, v44, v3, v20 op_sel:[0,1,0] op_sel_hi:[1,1,0]
	v_fma_mix_f32 v0, v8, v3, v0 op_sel:[0,1,0] op_sel_hi:[1,1,0]
	v_fma_mixlo_f16 v20, v20, v19, 0 op_sel_hi:[0,1,0]
	v_fma_mixlo_f16 v0, v0, v19, 0 op_sel:[0,1,0] op_sel_hi:[0,1,0]
	v_add_f16_e32 v20, v88, v20
	v_add_f16_e32 v0, v89, v0
	v_pack_b32_f16 v20, v20, v0
	ds_read_b128 v[0:3], v27 offset:560
	s_waitcnt lgkmcnt(0)
	v_fma_mix_f32 v28, v53, v0, 0 op_sel_hi:[1,1,0]
	v_fma_mix_f32 v28, v54, v0, v28 op_sel:[0,1,0] op_sel_hi:[1,1,0]
	v_fma_mix_f32 v28, v55, v1, v28 op_sel_hi:[1,1,0]
	v_fma_mix_f32 v28, v56, v1, v28 op_sel:[0,1,0] op_sel_hi:[1,1,0]
	v_fma_mix_f32 v28, v57, v2, v28 op_sel_hi:[1,1,0]
	v_fma_mix_f32 v28, v58, v2, v28 op_sel:[0,1,0] op_sel_hi:[1,1,0]
	v_fma_mix_f32 v28, v59, v3, v28 op_sel_hi:[1,1,0]
	v_fma_mix_f32 v28, v60, v3, v28 op_sel:[0,1,0] op_sel_hi:[1,1,0]
	v_fma_mixlo_f16 v28, v28, v18, 0 op_sel_hi:[0,1,0]
	v_add_f16_e32 v28, v33, v28
	v_fma_mix_f32 v33, v45, v0, 0 op_sel_hi:[1,1,0]
	v_fma_mix_f32 v33, v46, v0, v33 op_sel:[0,1,0] op_sel_hi:[1,1,0]
	v_fma_mix_f32 v33, v47, v1, v33 op_sel_hi:[1,1,0]
	v_fma_mix_f32 v33, v48, v1, v33 op_sel:[0,1,0] op_sel_hi:[1,1,0]
	v_fma_mix_f32 v33, v49, v2, v33 op_sel_hi:[1,1,0]
	v_fma_mix_f32 v33, v50, v2, v33 op_sel:[0,1,0] op_sel_hi:[1,1,0]
	v_fma_mix_f32 v33, v51, v3, v33 op_sel_hi:[1,1,0]
	v_fma_mix_f32 v33, v52, v3, v33 op_sel:[0,1,0] op_sel_hi:[1,1,0]
	v_fma_mixlo_f16 v33, v33, v18, 0 op_sel:[0,1,0] op_sel_hi:[0,1,0]
	v_add_f16_e32 v33, v72, v33
	v_pack_b32_f16 v33, v28, v33
	v_fma_mix_f32 v28, v37, v0, 0 op_sel_hi:[1,1,0]
	v_fma_mix_f32 v28, v38, v0, v28 op_sel:[0,1,0] op_sel_hi:[1,1,0]
	v_fma_mix_f32 v28, v39, v1, v28 op_sel_hi:[1,1,0]
	v_fma_mix_f32 v28, v40, v1, v28 op_sel:[0,1,0] op_sel_hi:[1,1,0]
	v_fma_mix_f32 v28, v41, v2, v28 op_sel_hi:[1,1,0]
	v_fma_mix_f32 v28, v42, v2, v28 op_sel:[0,1,0] op_sel_hi:[1,1,0]
	v_fma_mix_f32 v28, v43, v3, v28 op_sel_hi:[1,1,0]
	v_fma_mix_f32 v28, v44, v3, v28 op_sel:[0,1,0] op_sel_hi:[1,1,0]
	v_fma_mixlo_f16 v28, v28, v19, 0 op_sel_hi:[0,1,0]
	v_add_f16_e32 v28, v32, v28
	v_fma_mix_f32 v32, v30, v0, 0 op_sel_hi:[1,1,0]
	v_fma_mix_f32 v0, v31, v0, v32 op_sel:[0,1,0] op_sel_hi:[1,1,0]
	v_fma_mix_f32 v0, v29, v1, v0 op_sel_hi:[1,1,0]
	v_fma_mix_f32 v0, v13, v1, v0 op_sel:[0,1,0] op_sel_hi:[1,1,0]
	v_fma_mix_f32 v0, v12, v2, v0 op_sel_hi:[1,1,0]
	v_fma_mix_f32 v0, v10, v2, v0 op_sel:[0,1,0] op_sel_hi:[1,1,0]
	v_fma_mix_f32 v0, v9, v3, v0 op_sel_hi:[1,1,0]
	v_fma_mix_f32 v0, v8, v3, v0 op_sel:[0,1,0] op_sel_hi:[1,1,0]
	v_fma_mixlo_f16 v0, v0, v19, 0 op_sel:[0,1,0] op_sel_hi:[0,1,0]
	v_add_f16_e32 v0, v71, v0
	v_pack_b32_f16 v32, v28, v0
	ds_read_b128 v[0:3], v27 offset:816
	s_waitcnt lgkmcnt(0)
	v_fma_mix_f32 v28, v53, v0, 0 op_sel_hi:[1,1,0]
	v_fma_mix_f32 v28, v54, v0, v28 op_sel:[0,1,0] op_sel_hi:[1,1,0]
	v_fma_mix_f32 v28, v55, v1, v28 op_sel_hi:[1,1,0]
	v_fma_mix_f32 v28, v56, v1, v28 op_sel:[0,1,0] op_sel_hi:[1,1,0]
	v_fma_mix_f32 v28, v57, v2, v28 op_sel_hi:[1,1,0]
	v_fma_mix_f32 v28, v58, v2, v28 op_sel:[0,1,0] op_sel_hi:[1,1,0]
	v_fma_mix_f32 v28, v59, v3, v28 op_sel_hi:[1,1,0]
	v_fma_mix_f32 v28, v60, v3, v28 op_sel:[0,1,0] op_sel_hi:[1,1,0]
	v_fma_mixlo_f16 v28, v28, v18, 0 op_sel_hi:[0,1,0]
	v_add_f16_e32 v28, v35, v28
	v_fma_mix_f32 v35, v45, v0, 0 op_sel_hi:[1,1,0]
	v_fma_mix_f32 v35, v46, v0, v35 op_sel:[0,1,0] op_sel_hi:[1,1,0]
	v_fma_mix_f32 v35, v47, v1, v35 op_sel_hi:[1,1,0]
	v_fma_mix_f32 v35, v48, v1, v35 op_sel:[0,1,0] op_sel_hi:[1,1,0]
	v_fma_mix_f32 v35, v49, v2, v35 op_sel_hi:[1,1,0]
	v_fma_mix_f32 v35, v50, v2, v35 op_sel:[0,1,0] op_sel_hi:[1,1,0]
	v_fma_mix_f32 v35, v51, v3, v35 op_sel_hi:[1,1,0]
	v_fma_mix_f32 v35, v52, v3, v35 op_sel:[0,1,0] op_sel_hi:[1,1,0]
	v_fma_mixlo_f16 v35, v35, v18, 0 op_sel:[0,1,0] op_sel_hi:[0,1,0]
	v_add_f16_e32 v35, v70, v35
	v_pack_b32_f16 v35, v28, v35
	v_fma_mix_f32 v28, v37, v0, 0 op_sel_hi:[1,1,0]
	v_fma_mix_f32 v28, v38, v0, v28 op_sel:[0,1,0] op_sel_hi:[1,1,0]
	v_fma_mix_f32 v28, v39, v1, v28 op_sel_hi:[1,1,0]
	v_fma_mix_f32 v28, v40, v1, v28 op_sel:[0,1,0] op_sel_hi:[1,1,0]
	v_fma_mix_f32 v28, v41, v2, v28 op_sel_hi:[1,1,0]
	v_fma_mix_f32 v28, v42, v2, v28 op_sel:[0,1,0] op_sel_hi:[1,1,0]
	v_fma_mix_f32 v28, v43, v3, v28 op_sel_hi:[1,1,0]
	v_fma_mix_f32 v28, v44, v3, v28 op_sel:[0,1,0] op_sel_hi:[1,1,0]
	v_fma_mixlo_f16 v28, v28, v19, 0 op_sel_hi:[0,1,0]
	v_add_f16_e32 v28, v34, v28
	v_fma_mix_f32 v34, v30, v0, 0 op_sel_hi:[1,1,0]
	v_fma_mix_f32 v0, v31, v0, v34 op_sel:[0,1,0] op_sel_hi:[1,1,0]
	v_fma_mix_f32 v0, v29, v1, v0 op_sel_hi:[1,1,0]
	v_fma_mix_f32 v0, v13, v1, v0 op_sel:[0,1,0] op_sel_hi:[1,1,0]
	v_fma_mix_f32 v0, v12, v2, v0 op_sel_hi:[1,1,0]
	v_fma_mix_f32 v0, v10, v2, v0 op_sel:[0,1,0] op_sel_hi:[1,1,0]
	v_fma_mix_f32 v0, v9, v3, v0 op_sel_hi:[1,1,0]
	v_fma_mix_f32 v0, v8, v3, v0 op_sel:[0,1,0] op_sel_hi:[1,1,0]
	v_fma_mixlo_f16 v0, v0, v19, 0 op_sel:[0,1,0] op_sel_hi:[0,1,0]
	;; [unrolled: 44-line block ×4, first 2 shown]
	v_add_f16_e32 v0, v65, v0
	v_pack_b32_f16 v63, v28, v0
	ds_read_b128 v[0:3], v27 offset:1584
	s_waitcnt lgkmcnt(0)
	v_fma_mix_f32 v27, v53, v0, 0 op_sel_hi:[1,1,0]
	v_fma_mix_f32 v28, v45, v0, 0 op_sel_hi:[1,1,0]
	v_fma_mix_f32 v27, v54, v0, v27 op_sel:[0,1,0] op_sel_hi:[1,1,0]
	v_fma_mix_f32 v28, v46, v0, v28 op_sel:[0,1,0] op_sel_hi:[1,1,0]
	v_fma_mix_f32 v27, v55, v1, v27 op_sel_hi:[1,1,0]
	v_fma_mix_f32 v28, v47, v1, v28 op_sel_hi:[1,1,0]
	v_fma_mix_f32 v27, v56, v1, v27 op_sel:[0,1,0] op_sel_hi:[1,1,0]
	v_fma_mix_f32 v28, v48, v1, v28 op_sel:[0,1,0] op_sel_hi:[1,1,0]
	;; [unrolled: 4-line block ×4, first 2 shown]
	v_fma_mixlo_f16 v27, v27, v18, 0 op_sel_hi:[0,1,0]
	v_fma_mixlo_f16 v28, v28, v18, 0 op_sel:[0,1,0] op_sel_hi:[0,1,0]
	v_add_f16_e32 v27, v36, v27
	v_add_f16_e32 v11, v11, v28
	v_pack_b32_f16 v36, v27, v11
	v_fma_mix_f32 v11, v37, v0, 0 op_sel_hi:[1,1,0]
	v_fma_mix_f32 v11, v38, v0, v11 op_sel:[0,1,0] op_sel_hi:[1,1,0]
	v_fma_mix_f32 v11, v39, v1, v11 op_sel_hi:[1,1,0]
	v_fma_mix_f32 v11, v40, v1, v11 op_sel:[0,1,0] op_sel_hi:[1,1,0]
	;; [unrolled: 2-line block ×4, first 2 shown]
	v_fma_mixlo_f16 v11, v11, v19, 0 op_sel_hi:[0,1,0]
	v_add_f16_e32 v7, v7, v11
	v_fma_mix_f32 v11, v30, v0, 0 op_sel_hi:[1,1,0]
	v_fma_mix_f32 v0, v31, v0, v11 op_sel:[0,1,0] op_sel_hi:[1,1,0]
	v_fma_mix_f32 v0, v29, v1, v0 op_sel_hi:[1,1,0]
	v_fma_mix_f32 v0, v13, v1, v0 op_sel:[0,1,0] op_sel_hi:[1,1,0]
	;; [unrolled: 2-line block ×4, first 2 shown]
	v_fma_mixlo_f16 v0, v0, v19, 0 op_sel:[0,1,0] op_sel_hi:[0,1,0]
	v_add_f16_e32 v0, v6, v0
	v_pack_b32_f16 v37, v7, v0
	v_add_co_u32 v0, vcc_lo, v4, s2
	v_add_co_ci_u32_e64 v1, null, s3, v5, vcc_lo
	s_cbranch_scc1 .LBB42_22
.LBB42_20:                              ; =>This Inner Loop Header: Depth=1
	s_cmp_lg_u32 s18, s8
	s_cbranch_scc1 .LBB42_19
; %bb.21:                               ;   in Loop: Header=BB42_20 Depth=1
	s_add_i32 s6, s6, 1
	s_add_i32 s8, s8, s5
	s_mul_i32 s1, s6, s0
	s_ashr_i32 s9, s1, 31
	v_add_nc_u32_e32 v4, s1, v16
	s_lshr_b32 s9, s9, 30
	s_add_i32 s9, s1, s9
	v_ashrrev_i32_e32 v5, 31, v4
	s_ashr_i32 s9, s9, 2
	v_add_nc_u32_e32 v2, s9, v22
	v_lshlrev_b64 v[4:5], 1, v[4:5]
	v_ashrrev_i32_e32 v3, 31, v2
	v_lshlrev_b64 v[2:3], 2, v[2:3]
	v_add_co_u32 v2, vcc_lo, s10, v2
	v_add_co_ci_u32_e64 v3, null, s11, v3, vcc_lo
	global_load_dword v6, v[2:3], off
	v_add_co_u32 v2, vcc_lo, s12, v4
	v_add_co_ci_u32_e64 v3, null, s13, v5, vcc_lo
	global_load_dwordx2 v[18:19], v[2:3], off
	s_waitcnt vmcnt(1)
	v_and_b32_e32 v23, 0xff, v6
	v_bfe_u32 v24, v6, 8, 8
	v_bfe_u32 v25, v6, 16, 8
	v_lshrrev_b32_e32 v26, 24, v6
	s_branch .LBB42_19
.LBB42_22:
	v_mad_u64_u32 v[0:1], null, s7, s0, v[16:17]
	s_mov_b32 s1, 0
	v_ashrrev_i32_e32 v1, 31, v0
	v_lshlrev_b64 v[1:2], 1, v[0:1]
	v_add_co_u32 v1, vcc_lo, s14, v1
	v_add_co_ci_u32_e64 v2, null, s15, v2, vcc_lo
	global_load_dword v4, v[1:2], off
.LBB42_23:                              ; =>This Inner Loop Header: Depth=1
	s_waitcnt vmcnt(0)
	v_pk_add_f16 v3, v15, v4
	global_atomic_cmpswap v3, v[1:2], v[3:4], off glc
	s_waitcnt vmcnt(0)
	v_cmp_eq_u32_e32 vcc_lo, v4, v3
	v_mov_b32_e32 v4, v3
	s_or_b32 s1, vcc_lo, s1
	s_andn2_b32 exec_lo, exec_lo, s1
	s_cbranch_execnz .LBB42_23
; %bb.24:
	s_or_b32 exec_lo, exec_lo, s1
	global_load_dword v4, v[1:2], off offset:4
	s_mov_b32 s1, 0
.LBB42_25:                              ; =>This Inner Loop Header: Depth=1
	s_waitcnt vmcnt(0)
	v_pk_add_f16 v3, v14, v4
	global_atomic_cmpswap v3, v[1:2], v[3:4], off offset:4 glc
	s_waitcnt vmcnt(0)
	v_cmp_eq_u32_e32 vcc_lo, v4, v3
	v_mov_b32_e32 v4, v3
	s_or_b32 s1, vcc_lo, s1
	s_andn2_b32 exec_lo, exec_lo, s1
	s_cbranch_execnz .LBB42_25
; %bb.26:
	s_or_b32 exec_lo, exec_lo, s1
	v_add_nc_u32_e32 v0, s0, v0
	s_mov_b32 s1, 0
	v_ashrrev_i32_e32 v1, 31, v0
	v_lshlrev_b64 v[1:2], 1, v[0:1]
	v_add_co_u32 v1, vcc_lo, s14, v1
	v_add_co_ci_u32_e64 v2, null, s15, v2, vcc_lo
	global_load_dword v4, v[1:2], off
.LBB42_27:                              ; =>This Inner Loop Header: Depth=1
	s_waitcnt vmcnt(0)
	v_pk_add_f16 v3, v21, v4
	global_atomic_cmpswap v3, v[1:2], v[3:4], off glc
	s_waitcnt vmcnt(0)
	v_cmp_eq_u32_e32 vcc_lo, v4, v3
	v_mov_b32_e32 v4, v3
	s_or_b32 s1, vcc_lo, s1
	s_andn2_b32 exec_lo, exec_lo, s1
	s_cbranch_execnz .LBB42_27
; %bb.28:
	s_or_b32 exec_lo, exec_lo, s1
	global_load_dword v4, v[1:2], off offset:4
	s_mov_b32 s1, 0
.LBB42_29:                              ; =>This Inner Loop Header: Depth=1
	s_waitcnt vmcnt(0)
	v_pk_add_f16 v3, v20, v4
	global_atomic_cmpswap v3, v[1:2], v[3:4], off offset:4 glc
	s_waitcnt vmcnt(0)
	v_cmp_eq_u32_e32 vcc_lo, v4, v3
	v_mov_b32_e32 v4, v3
	s_or_b32 s1, vcc_lo, s1
	s_andn2_b32 exec_lo, exec_lo, s1
	s_cbranch_execnz .LBB42_29
; %bb.30:
	s_or_b32 exec_lo, exec_lo, s1
	v_add_nc_u32_e32 v0, s0, v0
	;; [unrolled: 33-line block ×6, first 2 shown]
	s_mov_b32 s0, 0
	v_ashrrev_i32_e32 v1, 31, v0
	v_lshlrev_b64 v[0:1], 1, v[0:1]
	v_add_co_u32 v0, vcc_lo, s14, v0
	v_add_co_ci_u32_e64 v1, null, s15, v1, vcc_lo
	global_load_dword v3, v[0:1], off
.LBB42_47:                              ; =>This Inner Loop Header: Depth=1
	s_waitcnt vmcnt(0)
	v_pk_add_f16 v2, v36, v3
	global_atomic_cmpswap v2, v[0:1], v[2:3], off glc
	s_waitcnt vmcnt(0)
	v_cmp_eq_u32_e32 vcc_lo, v3, v2
	v_mov_b32_e32 v3, v2
	s_or_b32 s0, vcc_lo, s0
	s_andn2_b32 exec_lo, exec_lo, s0
	s_cbranch_execnz .LBB42_47
; %bb.48:
	s_or_b32 exec_lo, exec_lo, s0
	global_load_dword v3, v[0:1], off offset:4
	s_mov_b32 s0, 0
.LBB42_49:                              ; =>This Inner Loop Header: Depth=1
	s_waitcnt vmcnt(0)
	v_pk_add_f16 v2, v37, v3
	global_atomic_cmpswap v2, v[0:1], v[2:3], off offset:4 glc
	s_waitcnt vmcnt(0)
	v_cmp_eq_u32_e32 vcc_lo, v3, v2
	v_mov_b32_e32 v3, v2
	s_or_b32 s0, vcc_lo, s0
	s_andn2_b32 exec_lo, exec_lo, s0
	s_cbranch_execnz .LBB42_49
.LBB42_50:
	s_endpgm
	.section	.rodata,"a",@progbits
	.p2align	6, 0x0
	.amdhsa_kernel _ZN4vllm4gptq33gemm_half_q_half_gptq_8bit_kernelILb1ELi7EEEvPK6__halfPKjS6_S4_PS2_iiiibPKi
		.amdhsa_group_segment_fixed_size 1792
		.amdhsa_private_segment_fixed_size 0
		.amdhsa_kernarg_size 72
		.amdhsa_user_sgpr_count 6
		.amdhsa_user_sgpr_private_segment_buffer 1
		.amdhsa_user_sgpr_dispatch_ptr 0
		.amdhsa_user_sgpr_queue_ptr 0
		.amdhsa_user_sgpr_kernarg_segment_ptr 1
		.amdhsa_user_sgpr_dispatch_id 0
		.amdhsa_user_sgpr_flat_scratch_init 0
		.amdhsa_user_sgpr_private_segment_size 0
		.amdhsa_wavefront_size32 1
		.amdhsa_uses_dynamic_stack 0
		.amdhsa_system_sgpr_private_segment_wavefront_offset 0
		.amdhsa_system_sgpr_workgroup_id_x 1
		.amdhsa_system_sgpr_workgroup_id_y 1
		.amdhsa_system_sgpr_workgroup_id_z 1
		.amdhsa_system_sgpr_workgroup_info 0
		.amdhsa_system_vgpr_workitem_id 0
		.amdhsa_next_free_vgpr 100
		.amdhsa_next_free_sgpr 24
		.amdhsa_reserve_vcc 1
		.amdhsa_reserve_flat_scratch 0
		.amdhsa_float_round_mode_32 0
		.amdhsa_float_round_mode_16_64 0
		.amdhsa_float_denorm_mode_32 3
		.amdhsa_float_denorm_mode_16_64 3
		.amdhsa_dx10_clamp 1
		.amdhsa_ieee_mode 1
		.amdhsa_fp16_overflow 0
		.amdhsa_workgroup_processor_mode 1
		.amdhsa_memory_ordered 1
		.amdhsa_forward_progress 1
		.amdhsa_shared_vgpr_count 0
		.amdhsa_exception_fp_ieee_invalid_op 0
		.amdhsa_exception_fp_denorm_src 0
		.amdhsa_exception_fp_ieee_div_zero 0
		.amdhsa_exception_fp_ieee_overflow 0
		.amdhsa_exception_fp_ieee_underflow 0
		.amdhsa_exception_fp_ieee_inexact 0
		.amdhsa_exception_int_div_zero 0
	.end_amdhsa_kernel
	.section	.text._ZN4vllm4gptq33gemm_half_q_half_gptq_8bit_kernelILb1ELi7EEEvPK6__halfPKjS6_S4_PS2_iiiibPKi,"axG",@progbits,_ZN4vllm4gptq33gemm_half_q_half_gptq_8bit_kernelILb1ELi7EEEvPK6__halfPKjS6_S4_PS2_iiiibPKi,comdat
.Lfunc_end42:
	.size	_ZN4vllm4gptq33gemm_half_q_half_gptq_8bit_kernelILb1ELi7EEEvPK6__halfPKjS6_S4_PS2_iiiibPKi, .Lfunc_end42-_ZN4vllm4gptq33gemm_half_q_half_gptq_8bit_kernelILb1ELi7EEEvPK6__halfPKjS6_S4_PS2_iiiibPKi
                                        ; -- End function
	.set _ZN4vllm4gptq33gemm_half_q_half_gptq_8bit_kernelILb1ELi7EEEvPK6__halfPKjS6_S4_PS2_iiiibPKi.num_vgpr, 100
	.set _ZN4vllm4gptq33gemm_half_q_half_gptq_8bit_kernelILb1ELi7EEEvPK6__halfPKjS6_S4_PS2_iiiibPKi.num_agpr, 0
	.set _ZN4vllm4gptq33gemm_half_q_half_gptq_8bit_kernelILb1ELi7EEEvPK6__halfPKjS6_S4_PS2_iiiibPKi.numbered_sgpr, 24
	.set _ZN4vllm4gptq33gemm_half_q_half_gptq_8bit_kernelILb1ELi7EEEvPK6__halfPKjS6_S4_PS2_iiiibPKi.num_named_barrier, 0
	.set _ZN4vllm4gptq33gemm_half_q_half_gptq_8bit_kernelILb1ELi7EEEvPK6__halfPKjS6_S4_PS2_iiiibPKi.private_seg_size, 0
	.set _ZN4vllm4gptq33gemm_half_q_half_gptq_8bit_kernelILb1ELi7EEEvPK6__halfPKjS6_S4_PS2_iiiibPKi.uses_vcc, 1
	.set _ZN4vllm4gptq33gemm_half_q_half_gptq_8bit_kernelILb1ELi7EEEvPK6__halfPKjS6_S4_PS2_iiiibPKi.uses_flat_scratch, 0
	.set _ZN4vllm4gptq33gemm_half_q_half_gptq_8bit_kernelILb1ELi7EEEvPK6__halfPKjS6_S4_PS2_iiiibPKi.has_dyn_sized_stack, 0
	.set _ZN4vllm4gptq33gemm_half_q_half_gptq_8bit_kernelILb1ELi7EEEvPK6__halfPKjS6_S4_PS2_iiiibPKi.has_recursion, 0
	.set _ZN4vllm4gptq33gemm_half_q_half_gptq_8bit_kernelILb1ELi7EEEvPK6__halfPKjS6_S4_PS2_iiiibPKi.has_indirect_call, 0
	.section	.AMDGPU.csdata,"",@progbits
; Kernel info:
; codeLenInByte = 13940
; TotalNumSgprs: 26
; NumVgprs: 100
; ScratchSize: 0
; MemoryBound: 0
; FloatMode: 240
; IeeeMode: 1
; LDSByteSize: 1792 bytes/workgroup (compile time only)
; SGPRBlocks: 0
; VGPRBlocks: 12
; NumSGPRsForWavesPerEU: 26
; NumVGPRsForWavesPerEU: 100
; Occupancy: 9
; WaveLimiterHint : 0
; COMPUTE_PGM_RSRC2:SCRATCH_EN: 0
; COMPUTE_PGM_RSRC2:USER_SGPR: 6
; COMPUTE_PGM_RSRC2:TRAP_HANDLER: 0
; COMPUTE_PGM_RSRC2:TGID_X_EN: 1
; COMPUTE_PGM_RSRC2:TGID_Y_EN: 1
; COMPUTE_PGM_RSRC2:TGID_Z_EN: 1
; COMPUTE_PGM_RSRC2:TIDIG_COMP_CNT: 0
	.section	.text._ZN4vllm4gptq33gemm_half_q_half_gptq_2bit_kernelILb1ELi8EEEvPK6__halfPKjS6_S4_PS2_iiiibPKi,"axG",@progbits,_ZN4vllm4gptq33gemm_half_q_half_gptq_2bit_kernelILb1ELi8EEEvPK6__halfPKjS6_S4_PS2_iiiibPKi,comdat
	.protected	_ZN4vllm4gptq33gemm_half_q_half_gptq_2bit_kernelILb1ELi8EEEvPK6__halfPKjS6_S4_PS2_iiiibPKi ; -- Begin function _ZN4vllm4gptq33gemm_half_q_half_gptq_2bit_kernelILb1ELi8EEEvPK6__halfPKjS6_S4_PS2_iiiibPKi
	.globl	_ZN4vllm4gptq33gemm_half_q_half_gptq_2bit_kernelILb1ELi8EEEvPK6__halfPKjS6_S4_PS2_iiiibPKi
	.p2align	8
	.type	_ZN4vllm4gptq33gemm_half_q_half_gptq_2bit_kernelILb1ELi8EEEvPK6__halfPKjS6_S4_PS2_iiiibPKi,@function
_ZN4vllm4gptq33gemm_half_q_half_gptq_2bit_kernelILb1ELi8EEEvPK6__halfPKjS6_S4_PS2_iiiibPKi: ; @_ZN4vllm4gptq33gemm_half_q_half_gptq_2bit_kernelILb1ELi8EEEvPK6__halfPKjS6_S4_PS2_iiiibPKi
; %bb.0:
	s_load_dwordx4 s[0:3], s[4:5], 0x2c
	s_lshl_b32 s18, s8, 7
	s_lshl_b32 s7, s7, 3
	s_add_i32 s8, s18, 0x80
	s_mov_b32 s20, exec_lo
	v_cvt_f64_u32_e32 v[1:2], s8
	s_load_dwordx8 s[8:15], s[4:5], 0x8
	s_waitcnt lgkmcnt(0)
	v_cvt_f64_i32_e32 v[3:4], s1
	v_min_f64 v[1:2], v[1:2], v[3:4]
	v_cvt_i32_f64_e32 v2, v[1:2]
	v_add_nc_u32_e32 v1, s18, v0
	v_readfirstlane_b32 s19, v2
	v_cmpx_lt_u32_e64 v1, v2
	s_cbranch_execz .LBB43_18
; %bb.1:
	s_clause 0x1
	s_load_dwordx2 s[16:17], s[4:5], 0x40
	s_load_dwordx2 s[4:5], s[4:5], 0x0
	v_mov_b32_e32 v2, 0
	v_lshlrev_b64 v[3:4], 2, v[1:2]
	v_mov_b32_e32 v6, v2
	v_mov_b32_e32 v5, v1
	s_waitcnt lgkmcnt(0)
	v_add_co_u32 v3, vcc_lo, s16, v3
	v_add_co_ci_u32_e64 v4, null, s17, v4, vcc_lo
	s_cmp_lg_u64 s[16:17], 0
	s_cselect_b32 s21, -1, 0
	s_cmp_eq_u64 s[16:17], 0
	s_cbranch_scc1 .LBB43_3
; %bb.2:
	global_load_dword v5, v[3:4], off
	s_waitcnt vmcnt(0)
	v_ashrrev_i32_e32 v6, 31, v5
.LBB43_3:
	s_mul_i32 s16, s7, s1
	v_lshlrev_b64 v[5:6], 1, v[5:6]
	s_ashr_i32 s17, s16, 31
	v_cndmask_b32_e64 v8, 0, 1, s21
	s_lshl_b64 s[22:23], s[16:17], 1
	v_lshlrev_b32_e32 v7, 1, v0
	s_add_u32 s17, s4, s22
	s_addc_u32 s22, s5, s23
	v_add_co_u32 v5, vcc_lo, s17, v5
	v_add_co_ci_u32_e64 v6, null, s22, v6, vcc_lo
	s_andn2_b32 vcc_lo, exec_lo, s21
	global_load_ushort v9, v[5:6], off
	v_mov_b32_e32 v6, v2
	v_mov_b32_e32 v5, v1
	s_waitcnt vmcnt(0)
	ds_write_b16 v7, v9
	s_cbranch_vccnz .LBB43_5
; %bb.4:
	global_load_dword v5, v[3:4], off
	s_waitcnt vmcnt(0)
	v_ashrrev_i32_e32 v6, 31, v5
.LBB43_5:
	s_add_i32 s16, s16, s1
	v_lshlrev_b64 v[5:6], 1, v[5:6]
	s_ashr_i32 s17, s16, 31
	s_lshl_b64 s[22:23], s[16:17], 1
	s_add_u32 s17, s4, s22
	s_addc_u32 s21, s5, s23
	v_add_co_u32 v5, vcc_lo, s17, v5
	v_add_co_ci_u32_e64 v6, null, s21, v6, vcc_lo
	v_cmp_ne_u32_e32 vcc_lo, 1, v8
	global_load_ushort v9, v[5:6], off
	v_mov_b32_e32 v6, v2
	v_mov_b32_e32 v5, v1
	s_waitcnt vmcnt(0)
	ds_write_b16 v7, v9 offset:256
	s_cbranch_vccnz .LBB43_7
; %bb.6:
	global_load_dword v5, v[3:4], off
	s_waitcnt vmcnt(0)
	v_ashrrev_i32_e32 v6, 31, v5
.LBB43_7:
	s_add_i32 s16, s16, s1
	v_lshlrev_b64 v[5:6], 1, v[5:6]
	s_ashr_i32 s17, s16, 31
	s_lshl_b64 s[22:23], s[16:17], 1
	s_add_u32 s17, s4, s22
	s_addc_u32 s21, s5, s23
	v_add_co_u32 v5, vcc_lo, s17, v5
	v_add_co_ci_u32_e64 v6, null, s21, v6, vcc_lo
	v_cmp_ne_u32_e32 vcc_lo, 1, v8
	global_load_ushort v9, v[5:6], off
	v_mov_b32_e32 v6, v2
	v_mov_b32_e32 v5, v1
	s_waitcnt vmcnt(0)
	ds_write_b16 v7, v9 offset:512
	;; [unrolled: 20-line block ×5, first 2 shown]
	s_cbranch_vccnz .LBB43_15
; %bb.14:
	global_load_dword v5, v[3:4], off
	s_waitcnt vmcnt(0)
	v_ashrrev_i32_e32 v6, 31, v5
.LBB43_15:
	s_add_i32 s16, s16, s1
	v_lshlrev_b64 v[5:6], 1, v[5:6]
	s_ashr_i32 s17, s16, 31
	s_lshl_b64 s[22:23], s[16:17], 1
	s_add_u32 s17, s4, s22
	s_addc_u32 s21, s5, s23
	v_add_co_u32 v5, vcc_lo, s17, v5
	v_add_co_ci_u32_e64 v6, null, s21, v6, vcc_lo
	v_cmp_ne_u32_e32 vcc_lo, 1, v8
	global_load_ushort v5, v[5:6], off
	s_waitcnt vmcnt(0)
	ds_write_b16 v7, v5 offset:1536
	s_cbranch_vccnz .LBB43_17
; %bb.16:
	global_load_dword v1, v[3:4], off
	s_waitcnt vmcnt(0)
	v_ashrrev_i32_e32 v2, 31, v1
.LBB43_17:
	s_add_i32 s16, s16, s1
	v_lshlrev_b64 v[1:2], 1, v[1:2]
	s_ashr_i32 s17, s16, 31
	s_lshl_b64 s[16:17], s[16:17], 1
	s_add_u32 s4, s4, s16
	s_addc_u32 s5, s5, s17
	v_add_co_u32 v1, vcc_lo, s4, v1
	v_add_co_ci_u32_e64 v2, null, s5, v2, vcc_lo
	global_load_ushort v1, v[1:2], off
	s_waitcnt vmcnt(0)
	ds_write_b16 v7, v1 offset:1792
.LBB43_18:
	s_or_b32 exec_lo, exec_lo, s20
	v_lshlrev_b32_e32 v1, 2, v0
	s_mov_b32 s4, exec_lo
	v_lshl_add_u32 v1, s6, 9, v1
	v_cmpx_gt_i32_e64 s0, v1
	s_cbranch_execz .LBB43_56
; %bb.19:
	s_abs_i32 s5, s2
	v_mov_b32_e32 v24, 0
	v_cvt_f32_u32_e32 v2, s5
	v_mov_b32_e32 v23, 0
	v_mov_b32_e32 v22, 0
	;; [unrolled: 1-line block ×4, first 2 shown]
	v_rcp_iflag_f32_e32 v2, v2
	v_mov_b32_e32 v19, 0
	v_mov_b32_e32 v18, 0
	v_mov_b32_e32 v17, 0
	v_mov_b32_e32 v16, 0
	v_mov_b32_e32 v15, 0
	v_mov_b32_e32 v14, 0
	v_mov_b32_e32 v13, 0
	v_mov_b32_e32 v12, 0
	v_mov_b32_e32 v11, 0
	v_mul_f32_e32 v2, 0x4f7ffffe, v2
	v_mov_b32_e32 v10, 0
	v_mov_b32_e32 v9, 0
	s_cmp_ge_i32 s18, s19
	s_mov_b32 s4, 0
	v_cvt_u32_f32_e32 v2, v2
	s_waitcnt lgkmcnt(0)
	s_barrier
	buffer_gl0_inv
	v_readfirstlane_b32 s6, v2
	s_cbranch_scc1 .LBB43_24
; %bb.20:
	s_sub_i32 s16, 0, s5
	s_abs_i32 s17, s1
	s_mul_i32 s16, s16, s6
	s_ashr_i32 s1, s1, 31
	s_mul_hi_u32 s16, s6, s16
	s_ashr_i32 s2, s2, 31
	s_add_i32 s6, s6, s16
	s_xor_b32 s1, s1, s2
	s_mul_hi_u32 s6, s17, s6
	v_lshlrev_b32_e32 v8, 3, v0
	s_mul_i32 s16, s6, s5
	v_mov_b32_e32 v9, 0
	s_sub_i32 s2, s17, s16
	s_add_i32 s16, s6, 1
	s_sub_i32 s17, s2, s5
	s_cmp_ge_u32 s2, s5
	v_and_b32_e32 v26, 24, v8
	s_cselect_b32 s6, s16, s6
	s_cselect_b32 s2, s17, s2
	s_add_i32 s16, s6, 1
	s_cmp_ge_u32 s2, s5
	v_mov_b32_e32 v0, 0x10001
	s_cselect_b32 s2, s16, s6
	v_mov_b32_e32 v10, 0
	s_xor_b32 s2, s2, s1
	v_mov_b32_e32 v11, 0
	s_sub_i32 s5, s2, s1
	s_bitcmp1_b32 s3, 0
	v_cvt_f32_u32_e32 v2, s5
	s_cselect_b32 s2, -1, 0
	s_sub_i32 s3, 0, s5
	s_xor_b32 s20, s2, -1
	v_mov_b32_e32 v12, 0
	v_rcp_iflag_f32_e32 v2, v2
	v_mov_b32_e32 v13, 0
	v_mov_b32_e32 v14, 0
	;; [unrolled: 1-line block ×9, first 2 shown]
	v_mul_f32_e32 v2, 0x4f7ffffe, v2
	v_mov_b32_e32 v22, 0
	v_mov_b32_e32 v23, 0
	v_mov_b32_e32 v24, 0
	s_mov_b32 s16, 0x10001
	v_cvt_u32_f32_e32 v2, v2
	s_mov_b32 s17, 0x30003
	v_readfirstlane_b32 s1, v2
	v_ashrrev_i32_e32 v2, 31, v1
	s_mul_i32 s3, s3, s1
	v_lshrrev_b32_e32 v3, 28, v2
	s_mul_hi_u32 s3, s1, s3
	s_add_i32 s1, s1, s3
	v_add_nc_u32_e32 v3, v1, v3
	s_mul_hi_u32 s1, s18, s1
	s_mul_i32 s3, s1, s5
	s_sub_i32 s2, s18, s3
	s_add_i32 s3, s1, 1
	s_sub_i32 s6, s2, s5
	s_cmp_ge_u32 s2, s5
	v_ashrrev_i32_e32 v25, 4, v3
	s_cselect_b32 s1, s3, s1
	s_cselect_b32 s2, s6, s2
	s_add_i32 s3, s1, 1
	s_cmp_ge_u32 s2, s5
	s_cselect_b32 s6, s3, s1
	s_mul_i32 s1, s6, s0
	s_ashr_i32 s2, s1, 31
	v_add_nc_u32_e32 v5, s1, v1
	s_lshr_b32 s2, s2, 28
	s_add_i32 s2, s1, s2
	s_lshr_b32 s1, s18, 4
	s_ashr_i32 s2, s2, 4
	v_ashrrev_i32_e32 v6, 31, v5
	v_add_nc_u32_e32 v3, s2, v25
	s_mul_i32 s2, s0, s1
	s_ashr_i32 s1, s0, 31
	s_ashr_i32 s3, s2, 31
	v_ashrrev_i32_e32 v4, 31, v3
	s_lshl_b64 s[2:3], s[2:3], 2
	v_lshlrev_b64 v[3:4], 2, v[3:4]
	v_add_co_u32 v3, vcc_lo, s10, v3
	v_add_co_ci_u32_e64 v4, null, s11, v4, vcc_lo
	global_load_dword v7, v[3:4], off
	v_lshlrev_b64 v[3:4], 1, v[5:6]
	v_lshlrev_b64 v[5:6], 2, v[1:2]
	v_cndmask_b32_e64 v2, 0, 1, s20
	s_add_i32 s20, s5, s18
	s_add_u32 s8, s8, s2
	s_addc_u32 s9, s9, s3
	v_add_co_u32 v3, vcc_lo, s12, v3
	v_add_co_ci_u32_e64 v4, null, s13, v4, vcc_lo
	v_add_co_u32 v5, vcc_lo, s8, v5
	v_add_co_ci_u32_e64 v6, null, s9, v6, vcc_lo
	global_load_dwordx2 v[3:4], v[3:4], off
	v_add_co_u32 v5, vcc_lo, v5, 8
	v_add_co_ci_u32_e64 v6, null, 0, v6, vcc_lo
	s_lshl_b64 s[2:3], s[0:1], 2
	s_mov_b32 s1, 0xc000c
	s_mov_b32 s8, 0x300030
	;; [unrolled: 1-line block ×3, first 2 shown]
	s_waitcnt vmcnt(1)
	v_lshrrev_b32_e32 v8, v8, v7
	v_bfe_u32 v27, v7, v26, 2
	v_bfe_u32 v28, v8, 2, 2
	;; [unrolled: 1-line block ×4, first 2 shown]
	s_branch .LBB43_22
.LBB43_21:                              ;   in Loop: Header=BB43_22 Depth=1
	global_load_dwordx4 v[31:34], v[5:6], off offset:-8
	v_add_nc_u32_e32 v43, v28, v2
	v_add_nc_u32_e32 v45, v29, v2
	s_add_i32 s21, s4, 0x400
	v_add_co_u32 v5, vcc_lo, v5, s2
	v_cvt_f32_i32_e32 v44, v43
	v_cvt_f32_i32_e32 v46, v45
	v_and_b32_e32 v47, 0x1bff, v45
	v_add_nc_u32_e32 v45, v30, v2
	v_and_b32_e32 v43, 0x1bff, v43
	v_cvt_f16_f32_e32 v87, v44
	v_cvt_f16_f32_e32 v92, v46
	v_add_co_ci_u32_e64 v6, null, s3, v6, vcc_lo
	v_cvt_f32_i32_e32 v48, v45
	v_and_b32_e32 v49, 0x1bff, v45
	v_mad_u32_u24 v44, v43, s16, 0xe400e400
	v_mad_u32_u24 v43, v47, s16, 0xe400e400
	s_add_i32 s18, s18, 16
	v_cvt_f16_f32_e32 v93, v48
	s_waitcnt vmcnt(0)
	v_and_or_b32 v7, v31, s17, 0x64006400
	v_and_or_b32 v35, v31, s1, 0x64006400
	v_and_or_b32 v82, v31, s8, 0x64006400
	v_and_or_b32 v83, v31, s9, 0x64006400
	v_lshrrev_b32_e32 v8, 8, v31
	v_and_or_b32 v36, v32, s17, 0x64006400
	v_and_or_b32 v37, v32, s1, 0x64006400
	v_and_or_b32 v84, v32, s8, 0x64006400
	v_and_or_b32 v86, v32, s9, 0x64006400
	v_lshrrev_b32_e32 v31, 8, v32
	;; [unrolled: 5-line block ×4, first 2 shown]
	v_add_nc_u32_e32 v34, v27, v2
	v_pk_add_f16 v36, v44, v36
	v_pk_add_f16 v38, v43, v38
	v_cvt_f32_i32_e32 v42, v34
	v_and_b32_e32 v34, 0x1bff, v34
	v_cvt_f16_f32_e32 v85, v42
	v_mad_u32_u24 v45, v34, s16, 0xe400e400
	v_mad_u32_u24 v42, v49, s16, 0xe400e400
	v_sub_f16_e32 v34, 0xdc00, v85
	v_pk_add_f16 v57, v45, v7
	v_mov_b32_e32 v7, s4
	v_pk_add_f16 v40, v42, v40
	v_mul_u32_u24_sdwa v49, v34, v0 dst_sel:DWORD dst_unused:UNUSED_PAD src0_sel:WORD_0 src1_sel:DWORD
	v_sub_f16_e32 v34, 0xdc00, v87
	v_pk_fma_f16 v65, 0x3400, v35, v49 op_sel_hi:[0,1,1]
	v_mul_u32_u24_sdwa v48, v34, v0 dst_sel:DWORD dst_unused:UNUSED_PAD src0_sel:WORD_0 src1_sel:DWORD
	v_sub_f16_e32 v34, 0xdc00, v92
	v_pk_fma_f16 v37, 0x3400, v37, v48 op_sel_hi:[0,1,1]
	;; [unrolled: 3-line block ×3, first 2 shown]
	v_mul_u32_u24_sdwa v46, v34, v0 dst_sel:DWORD dst_unused:UNUSED_PAD src0_sel:WORD_0 src1_sel:DWORD
	ds_read2_b32 v[34:35], v7 offset1:1
	v_pk_fma_f16 v41, 0x3400, v41, v46 op_sel_hi:[0,1,1]
	s_waitcnt lgkmcnt(0)
	v_pk_fma_f16 v51, v36, v34, 0
	v_pk_fma_f16 v50, v57, v34, 0
	v_pk_fma_f16 v58, v37, v35, v51
	v_pk_fma_f16 v51, v38, v34, 0
	v_pk_fma_f16 v34, v40, v34, 0
	v_pk_fma_f16 v50, v65, v35, v50
	v_pk_fma_f16 v66, v39, v35, v51
	v_pk_fma_f16 v74, v41, v35, v34
	ds_read2_b32 v[34:35], v7 offset0:64 offset1:65
	s_waitcnt lgkmcnt(0)
	v_pk_fma_f16 v52, v36, v34, 0
	v_pk_fma_f16 v51, v57, v34, 0
	v_pk_fma_f16 v59, v37, v35, v52
	v_pk_fma_f16 v52, v38, v34, 0
	v_pk_fma_f16 v34, v40, v34, 0
	v_pk_fma_f16 v51, v65, v35, v51
	v_pk_fma_f16 v67, v39, v35, v52
	v_pk_fma_f16 v75, v41, v35, v34
	ds_read2_b32 v[34:35], v7 offset0:128 offset1:129
	s_waitcnt lgkmcnt(0)
	v_pk_fma_f16 v53, v36, v34, 0
	v_pk_fma_f16 v52, v57, v34, 0
	v_pk_fma_f16 v60, v37, v35, v53
	v_pk_fma_f16 v53, v38, v34, 0
	v_pk_fma_f16 v34, v40, v34, 0
	v_pk_fma_f16 v52, v65, v35, v52
	v_pk_fma_f16 v68, v39, v35, v53
	v_pk_fma_f16 v76, v41, v35, v34
	ds_read2_b32 v[34:35], v7 offset0:192 offset1:193
	s_waitcnt lgkmcnt(0)
	v_pk_fma_f16 v54, v36, v34, 0
	v_pk_fma_f16 v53, v57, v34, 0
	v_pk_fma_f16 v61, v37, v35, v54
	v_pk_fma_f16 v54, v38, v34, 0
	v_pk_fma_f16 v34, v40, v34, 0
	v_pk_fma_f16 v53, v65, v35, v53
	v_pk_fma_f16 v69, v39, v35, v54
	v_pk_fma_f16 v77, v41, v35, v34
	v_mov_b32_e32 v34, s21
	s_add_i32 s21, s4, 0x500
	ds_read2_b32 v[34:35], v34 offset1:1
	s_waitcnt lgkmcnt(0)
	v_pk_fma_f16 v55, v36, v34, 0
	v_pk_fma_f16 v54, v57, v34, 0
	v_pk_fma_f16 v62, v37, v35, v55
	v_pk_fma_f16 v55, v38, v34, 0
	v_pk_fma_f16 v34, v40, v34, 0
	v_pk_fma_f16 v54, v65, v35, v54
	v_pk_fma_f16 v70, v39, v35, v55
	v_pk_fma_f16 v78, v41, v35, v34
	v_mov_b32_e32 v34, s21
	s_add_i32 s21, s4, 0x600
	ds_read2_b32 v[34:35], v34 offset1:1
	;; [unrolled: 12-line block ×4, first 2 shown]
	s_waitcnt lgkmcnt(0)
	v_pk_fma_f16 v57, v57, v34, 0
	v_pk_fma_f16 v36, v36, v34, 0
	;; [unrolled: 1-line block ×6, first 2 shown]
	v_sub_f16_e32 v37, 0xcc00, v87
	v_pk_fma_f16 v73, v39, v35, v36
	v_pk_fma_f16 v81, v41, v35, v34
	v_sub_f16_e32 v34, 0xd400, v85
	v_sub_f16_e32 v35, 0xcc00, v85
	;; [unrolled: 1-line block ×7, first 2 shown]
	v_mul_u32_u24_sdwa v41, v34, v0 dst_sel:DWORD dst_unused:UNUSED_PAD src0_sel:WORD_0 src1_sel:DWORD
	v_mul_u32_u24_sdwa v40, v35, v0 dst_sel:DWORD dst_unused:UNUSED_PAD src0_sel:WORD_0 src1_sel:DWORD
	;; [unrolled: 1-line block ×8, first 2 shown]
	v_pk_fma_f16 v85, 0x2c00, v82, v41 op_sel_hi:[0,1,1]
	v_pk_fma_f16 v82, 0x2400, v83, v40 op_sel_hi:[0,1,1]
	;; [unrolled: 1-line block ×7, first 2 shown]
	ds_read2_b32 v[90:91], v7 offset0:2 offset1:3
	v_pk_fma_f16 v88, 0x2c00, v88, v37 op_sel_hi:[0,1,1]
	s_waitcnt lgkmcnt(0)
	v_pk_fma_f16 v50, v85, v90, v50
	v_pk_fma_f16 v58, v87, v90, v58
	v_pk_fma_f16 v66, v88, v90, v66
	v_pk_fma_f16 v74, v89, v90, v74
	v_pk_fma_f16 v50, v82, v91, v50
	v_pk_fma_f16 v58, v83, v91, v58
	v_pk_fma_f16 v66, v84, v91, v66
	v_pk_fma_f16 v74, v86, v91, v74
	ds_read2_b32 v[90:91], v7 offset0:66 offset1:67
	s_waitcnt lgkmcnt(0)
	v_pk_fma_f16 v51, v85, v90, v51
	v_pk_fma_f16 v92, v87, v90, v59
	v_pk_fma_f16 v93, v88, v90, v67
	v_pk_fma_f16 v90, v89, v90, v75
	v_pk_fma_f16 v59, v82, v91, v51
	v_pk_fma_f16 v67, v83, v91, v92
	v_pk_fma_f16 v75, v84, v91, v93
	v_pk_fma_f16 v90, v86, v91, v90
	ds_read2_b32 v[91:92], v7 offset0:130 offset1:131
	s_waitcnt lgkmcnt(0)
	v_pk_fma_f16 v51, v85, v91, v52
	v_pk_fma_f16 v52, v87, v91, v60
	;; [unrolled: 1-line block ×6, first 2 shown]
	ds_read2_b32 v[51:52], v7 offset0:194 offset1:195
	v_pk_fma_f16 v76, v84, v92, v93
	v_pk_fma_f16 v91, v86, v92, v91
	s_waitcnt lgkmcnt(0)
	v_pk_fma_f16 v53, v85, v51, v53
	v_pk_fma_f16 v61, v87, v51, v61
	v_pk_fma_f16 v92, v88, v51, v69
	v_pk_fma_f16 v51, v89, v51, v77
	v_pk_fma_f16 v53, v82, v52, v53
	v_pk_fma_f16 v69, v83, v52, v61
	v_pk_fma_f16 v77, v84, v52, v92
	v_pk_fma_f16 v92, v86, v52, v51
	v_mov_b32_e32 v51, s21
	s_add_i32 s21, s4, 0x508
	ds_read2_b32 v[51:52], v51 offset1:1
	s_waitcnt lgkmcnt(0)
	v_pk_fma_f16 v54, v85, v51, v54
	v_pk_fma_f16 v61, v87, v51, v62
	v_pk_fma_f16 v62, v88, v51, v70
	v_pk_fma_f16 v51, v89, v51, v78
	v_pk_fma_f16 v54, v82, v52, v54
	v_pk_fma_f16 v78, v83, v52, v61
	v_pk_fma_f16 v93, v84, v52, v62
	v_pk_fma_f16 v94, v86, v52, v51
	v_mov_b32_e32 v51, s21
	s_add_i32 s21, s4, 0x608
	ds_read2_b32 v[51:52], v51 offset1:1
	;; [unrolled: 12-line block ×4, first 2 shown]
	s_waitcnt lgkmcnt(0)
	v_pk_fma_f16 v56, v85, v51, v57
	v_pk_fma_f16 v57, v87, v51, v65
	;; [unrolled: 1-line block ×8, first 2 shown]
	v_and_or_b32 v51, v8, s17, 0x64006400
	v_pk_add_f16 v85, v45, v51
	v_and_or_b32 v45, v8, s1, 0x64006400
	v_pk_fma_f16 v45, 0x3400, v45, v49 op_sel_hi:[0,1,1]
	v_and_or_b32 v49, v31, s17, 0x64006400
	v_pk_add_f16 v86, v44, v49
	v_and_or_b32 v44, v31, s1, 0x64006400
	v_pk_fma_f16 v44, 0x3400, v44, v48 op_sel_hi:[0,1,1]
	;; [unrolled: 4-line block ×4, first 2 shown]
	ds_read2_b32 v[46:47], v7 offset0:4 offset1:5
	s_waitcnt lgkmcnt(0)
	v_pk_fma_f16 v48, v85, v46, v50
	v_pk_fma_f16 v49, v86, v46, v58
	v_pk_fma_f16 v50, v43, v46, v66
	v_pk_fma_f16 v46, v42, v46, v74
	v_pk_fma_f16 v51, v45, v47, v48
	v_pk_fma_f16 v52, v44, v47, v49
	v_pk_fma_f16 v72, v87, v47, v50
	v_pk_fma_f16 v73, v88, v47, v46
	ds_read2_b32 v[46:47], v7 offset0:68 offset1:69
	s_waitcnt lgkmcnt(0)
	v_pk_fma_f16 v48, v85, v46, v59
	v_pk_fma_f16 v49, v86, v46, v67
	v_pk_fma_f16 v56, v43, v46, v75
	v_pk_fma_f16 v46, v42, v46, v90
	v_pk_fma_f16 v50, v45, v47, v48
	v_pk_fma_f16 v59, v44, v47, v49
	v_pk_fma_f16 v61, v87, v47, v56
	v_pk_fma_f16 v71, v88, v47, v46
	ds_read2_b32 v[46:47], v7 offset0:132 offset1:133
	s_waitcnt lgkmcnt(0)
	v_pk_fma_f16 v48, v85, v46, v60
	v_pk_fma_f16 v49, v86, v46, v68
	v_pk_fma_f16 v56, v43, v46, v76
	v_pk_fma_f16 v46, v42, v46, v91
	v_pk_fma_f16 v57, v45, v47, v48
	v_pk_fma_f16 v58, v44, v47, v49
	v_pk_fma_f16 v67, v87, v47, v56
	v_pk_fma_f16 v68, v88, v47, v46
	ds_read2_b32 v[46:47], v7 offset0:196 offset1:197
	s_waitcnt lgkmcnt(0)
	v_pk_fma_f16 v48, v85, v46, v53
	v_pk_fma_f16 v49, v86, v46, v69
	v_pk_fma_f16 v53, v43, v46, v77
	v_pk_fma_f16 v46, v42, v46, v92
	v_pk_fma_f16 v60, v45, v47, v48
	v_pk_fma_f16 v62, v44, v47, v49
	v_pk_fma_f16 v69, v87, v47, v53
	v_pk_fma_f16 v70, v88, v47, v46
	v_mov_b32_e32 v46, s21
	s_add_i32 s21, s4, 0x510
	ds_read2_b32 v[46:47], v46 offset1:1
	s_waitcnt lgkmcnt(0)
	v_pk_fma_f16 v48, v85, v46, v54
	v_pk_fma_f16 v49, v86, v46, v78
	v_pk_fma_f16 v53, v43, v46, v93
	v_pk_fma_f16 v46, v42, v46, v94
	v_pk_fma_f16 v63, v45, v47, v48
	v_pk_fma_f16 v64, v44, v47, v49
	v_pk_fma_f16 v65, v87, v47, v53
	v_pk_fma_f16 v66, v88, v47, v46
	v_mov_b32_e32 v46, s21
	s_add_i32 s21, s4, 0x610
	ds_read2_b32 v[46:47], v46 offset1:1
	s_waitcnt lgkmcnt(0)
	v_pk_fma_f16 v48, v85, v46, v55
	v_pk_fma_f16 v49, v86, v46, v79
	;; [unrolled: 1-line block ×8, first 2 shown]
	v_mov_b32_e32 v46, s21
	s_add_i32 s21, s4, 0x710
	ds_read2_b32 v[48:49], v46 offset1:1
	s_waitcnt lgkmcnt(0)
	v_pk_fma_f16 v74, v43, v48, v98
	v_pk_fma_f16 v46, v85, v48, v80
	;; [unrolled: 1-line block ×5, first 2 shown]
	v_mov_b32_e32 v74, s21
	v_pk_fma_f16 v46, v45, v49, v46
	v_pk_fma_f16 v47, v44, v49, v47
	;; [unrolled: 1-line block ×3, first 2 shown]
	s_add_i32 s21, s4, 0x418
	ds_read2_b32 v[74:75], v74 offset1:1
	s_waitcnt lgkmcnt(0)
	v_pk_fma_f16 v76, v85, v74, v81
	v_pk_fma_f16 v77, v86, v74, v82
	;; [unrolled: 1-line block ×8, first 2 shown]
	v_and_or_b32 v74, v8, s8, 0x64006400
	v_and_or_b32 v8, v8, s9, 0x64006400
	v_pk_fma_f16 v41, 0x2c00, v74, v41 op_sel_hi:[0,1,1]
	v_pk_fma_f16 v40, 0x2400, v8, v40 op_sel_hi:[0,1,1]
	v_and_or_b32 v8, v31, s8, 0x64006400
	ds_read2_b32 v[74:75], v7 offset0:6 offset1:7
	v_pk_fma_f16 v39, 0x2c00, v8, v39 op_sel_hi:[0,1,1]
	v_and_or_b32 v8, v31, s9, 0x64006400
	v_pk_fma_f16 v31, 0x2400, v8, v38 op_sel_hi:[0,1,1]
	v_and_or_b32 v8, v32, s8, 0x64006400
	;; [unrolled: 2-line block ×4, first 2 shown]
	s_waitcnt lgkmcnt(0)
	v_pk_fma_f16 v36, v37, v74, v72
	v_pk_fma_f16 v35, 0x2c00, v8, v35 op_sel_hi:[0,1,1]
	v_and_or_b32 v8, v33, s9, 0x64006400
	v_pk_fma_f16 v38, v35, v74, v73
	ds_read2_b32 v[72:73], v7 offset0:70 offset1:71
	v_pk_fma_f16 v33, 0x2400, v8, v34 op_sel_hi:[0,1,1]
	v_pk_fma_f16 v8, v41, v74, v51
	v_pk_fma_f16 v34, v39, v74, v52
	;; [unrolled: 1-line block ×6, first 2 shown]
	s_waitcnt lgkmcnt(0)
	v_pk_fma_f16 v8, v41, v72, v50
	v_pk_fma_f16 v38, v39, v72, v59
	;; [unrolled: 1-line block ×8, first 2 shown]
	ds_read2_b32 v[71:72], v7 offset0:134 offset1:135
	s_waitcnt lgkmcnt(0)
	v_pk_fma_f16 v8, v41, v71, v57
	v_pk_fma_f16 v57, v39, v71, v58
	;; [unrolled: 1-line block ×5, first 2 shown]
	ds_read2_b32 v[7:8], v7 offset0:198 offset1:199
	v_pk_fma_f16 v68, v31, v72, v57
	v_pk_fma_f16 v57, v32, v72, v58
	;; [unrolled: 1-line block ×3, first 2 shown]
	s_waitcnt lgkmcnt(0)
	v_pk_fma_f16 v60, v41, v7, v60
	v_pk_fma_f16 v62, v39, v7, v62
	;; [unrolled: 1-line block ×8, first 2 shown]
	v_mov_b32_e32 v7, s21
	s_add_i32 s21, s4, 0x518
	ds_read2_b32 v[7:8], v7 offset1:1
	s_waitcnt lgkmcnt(0)
	v_pk_fma_f16 v63, v41, v7, v63
	v_pk_fma_f16 v64, v39, v7, v64
	;; [unrolled: 1-line block ×8, first 2 shown]
	v_mov_b32_e32 v7, s21
	s_add_i32 s21, s4, 0x618
	ds_read2_b32 v[7:8], v7 offset1:1
	s_waitcnt lgkmcnt(0)
	v_pk_fma_f16 v53, v41, v7, v53
	v_pk_fma_f16 v54, v39, v7, v54
	;; [unrolled: 1-line block ×8, first 2 shown]
	v_mov_b32_e32 v7, s21
	s_add_i32 s21, s4, 0x718
	s_add_i32 s4, s4, 32
	s_cmp_ge_i32 s18, s19
	ds_read2_b32 v[7:8], v7 offset1:1
	s_waitcnt lgkmcnt(0)
	v_pk_fma_f16 v46, v41, v7, v46
	v_pk_fma_f16 v47, v39, v7, v47
	;; [unrolled: 1-line block ×8, first 2 shown]
	v_mov_b32_e32 v7, s21
	ds_read2_b32 v[7:8], v7 offset1:1
	s_waitcnt lgkmcnt(0)
	v_pk_fma_f16 v41, v41, v7, v42
	v_pk_fma_f16 v39, v39, v7, v43
	;; [unrolled: 1-line block ×4, first 2 shown]
	v_pack_b32_f16 v42, v65, v66
	v_pk_fma_f16 v35, v40, v8, v41
	v_pk_fma_f16 v31, v31, v8, v39
	;; [unrolled: 1-line block ×4, first 2 shown]
	v_pack_b32_f16 v8, v51, v52
	v_perm_b32 v33, v52, v51, 0x7060302
	v_pack_b32_f16 v37, v67, v68
	v_perm_b32 v39, v68, v67, 0x7060302
	;; [unrolled: 2-line block ×3, first 2 shown]
	v_pk_add_f16 v8, v8, v33
	v_perm_b32 v33, v61, v59, 0x7060302
	v_perm_b32 v43, v66, v65, 0x7060302
	v_pack_b32_f16 v44, v55, v56
	v_perm_b32 v45, v56, v55, 0x7060302
	v_pk_fma_f16 v24, v8, v3, v24
	v_pack_b32_f16 v8, v59, v61
	v_pk_add_f16 v8, v8, v33
	v_pk_add_f16 v33, v37, v39
	;; [unrolled: 1-line block ×5, first 2 shown]
	v_pk_fma_f16 v22, v8, v3, v22
	v_pk_fma_f16 v20, v33, v3, v20
	;; [unrolled: 1-line block ×5, first 2 shown]
	v_pack_b32_f16 v8, v48, v49
	v_perm_b32 v33, v49, v48, 0x7060302
	v_pack_b32_f16 v37, v35, v31
	v_perm_b32 v31, v31, v35, 0x7060302
	;; [unrolled: 2-line block ×5, first 2 shown]
	v_pk_add_f16 v8, v8, v33
	v_pk_add_f16 v31, v37, v31
	;; [unrolled: 1-line block ×5, first 2 shown]
	v_pk_fma_f16 v12, v8, v3, v12
	v_pk_fma_f16 v10, v31, v3, v10
	;; [unrolled: 1-line block ×5, first 2 shown]
	v_pack_b32_f16 v8, v60, v62
	v_perm_b32 v31, v62, v60, 0x7060302
	v_pack_b32_f16 v33, v63, v64
	v_perm_b32 v34, v64, v63, 0x7060302
	;; [unrolled: 2-line block ×5, first 2 shown]
	v_pk_add_f16 v8, v8, v31
	v_pk_add_f16 v31, v33, v34
	v_pk_add_f16 v32, v35, v36
	v_pk_add_f16 v33, v37, v38
	v_pk_add_f16 v7, v39, v7
	v_pk_fma_f16 v17, v8, v4, v17
	v_pk_fma_f16 v15, v31, v4, v15
	;; [unrolled: 1-line block ×5, first 2 shown]
	s_cbranch_scc1 .LBB43_24
.LBB43_22:                              ; =>This Inner Loop Header: Depth=1
	s_cmp_lg_u32 s18, s20
	s_cbranch_scc1 .LBB43_21
; %bb.23:                               ;   in Loop: Header=BB43_22 Depth=1
	s_add_i32 s6, s6, 1
	s_add_i32 s20, s20, s5
	s_mul_i32 s21, s6, s0
	s_ashr_i32 s22, s21, 31
	v_add_nc_u32_e32 v7, s21, v1
	s_lshr_b32 s22, s22, 28
	s_add_i32 s22, s21, s22
	v_ashrrev_i32_e32 v8, 31, v7
	s_ashr_i32 s22, s22, 4
	s_waitcnt vmcnt(0)
	v_add_nc_u32_e32 v3, s22, v25
	v_lshlrev_b64 v[7:8], 1, v[7:8]
	v_ashrrev_i32_e32 v4, 31, v3
	v_lshlrev_b64 v[3:4], 2, v[3:4]
	v_add_co_u32 v3, vcc_lo, s10, v3
	v_add_co_ci_u32_e64 v4, null, s11, v4, vcc_lo
	global_load_dword v27, v[3:4], off
	v_add_co_u32 v3, vcc_lo, s12, v7
	v_add_co_ci_u32_e64 v4, null, s13, v8, vcc_lo
	global_load_dwordx2 v[3:4], v[3:4], off
	s_waitcnt vmcnt(1)
	v_lshrrev_b32_e32 v7, v26, v27
	v_bfe_u32 v27, v27, v26, 2
	v_bfe_u32 v28, v7, 2, 2
	;; [unrolled: 1-line block ×4, first 2 shown]
	s_branch .LBB43_21
.LBB43_24:
	v_mad_u64_u32 v[0:1], null, s7, s0, v[1:2]
	s_mov_b32 s1, 0
	v_ashrrev_i32_e32 v1, 31, v0
	v_lshlrev_b64 v[1:2], 1, v[0:1]
	v_add_co_u32 v1, vcc_lo, s14, v1
	v_add_co_ci_u32_e64 v2, null, s15, v2, vcc_lo
	global_load_dword v4, v[1:2], off
.LBB43_25:                              ; =>This Inner Loop Header: Depth=1
	s_waitcnt vmcnt(0)
	v_pk_add_f16 v3, v24, v4
	global_atomic_cmpswap v3, v[1:2], v[3:4], off glc
	s_waitcnt vmcnt(0)
	v_cmp_eq_u32_e32 vcc_lo, v4, v3
	v_mov_b32_e32 v4, v3
	s_or_b32 s1, vcc_lo, s1
	s_andn2_b32 exec_lo, exec_lo, s1
	s_cbranch_execnz .LBB43_25
; %bb.26:
	s_or_b32 exec_lo, exec_lo, s1
	global_load_dword v4, v[1:2], off offset:4
	s_mov_b32 s1, 0
.LBB43_27:                              ; =>This Inner Loop Header: Depth=1
	s_waitcnt vmcnt(0)
	v_pk_add_f16 v3, v23, v4
	global_atomic_cmpswap v3, v[1:2], v[3:4], off offset:4 glc
	s_waitcnt vmcnt(0)
	v_cmp_eq_u32_e32 vcc_lo, v4, v3
	v_mov_b32_e32 v4, v3
	s_or_b32 s1, vcc_lo, s1
	s_andn2_b32 exec_lo, exec_lo, s1
	s_cbranch_execnz .LBB43_27
; %bb.28:
	s_or_b32 exec_lo, exec_lo, s1
	v_add_nc_u32_e32 v0, s0, v0
	s_mov_b32 s1, 0
	v_ashrrev_i32_e32 v1, 31, v0
	v_lshlrev_b64 v[1:2], 1, v[0:1]
	v_add_co_u32 v1, vcc_lo, s14, v1
	v_add_co_ci_u32_e64 v2, null, s15, v2, vcc_lo
	global_load_dword v4, v[1:2], off
.LBB43_29:                              ; =>This Inner Loop Header: Depth=1
	s_waitcnt vmcnt(0)
	v_pk_add_f16 v3, v22, v4
	global_atomic_cmpswap v3, v[1:2], v[3:4], off glc
	s_waitcnt vmcnt(0)
	v_cmp_eq_u32_e32 vcc_lo, v4, v3
	v_mov_b32_e32 v4, v3
	s_or_b32 s1, vcc_lo, s1
	s_andn2_b32 exec_lo, exec_lo, s1
	s_cbranch_execnz .LBB43_29
; %bb.30:
	s_or_b32 exec_lo, exec_lo, s1
	global_load_dword v4, v[1:2], off offset:4
	s_mov_b32 s1, 0
.LBB43_31:                              ; =>This Inner Loop Header: Depth=1
	s_waitcnt vmcnt(0)
	v_pk_add_f16 v3, v21, v4
	global_atomic_cmpswap v3, v[1:2], v[3:4], off offset:4 glc
	s_waitcnt vmcnt(0)
	v_cmp_eq_u32_e32 vcc_lo, v4, v3
	v_mov_b32_e32 v4, v3
	s_or_b32 s1, vcc_lo, s1
	s_andn2_b32 exec_lo, exec_lo, s1
	s_cbranch_execnz .LBB43_31
; %bb.32:
	s_or_b32 exec_lo, exec_lo, s1
	v_add_nc_u32_e32 v0, s0, v0
	;; [unrolled: 33-line block ×7, first 2 shown]
	s_mov_b32 s0, 0
	v_ashrrev_i32_e32 v1, 31, v0
	v_lshlrev_b64 v[0:1], 1, v[0:1]
	v_add_co_u32 v0, vcc_lo, s14, v0
	v_add_co_ci_u32_e64 v1, null, s15, v1, vcc_lo
	global_load_dword v3, v[0:1], off
.LBB43_53:                              ; =>This Inner Loop Header: Depth=1
	s_waitcnt vmcnt(0)
	v_pk_add_f16 v2, v10, v3
	global_atomic_cmpswap v2, v[0:1], v[2:3], off glc
	s_waitcnt vmcnt(0)
	v_cmp_eq_u32_e32 vcc_lo, v3, v2
	v_mov_b32_e32 v3, v2
	s_or_b32 s0, vcc_lo, s0
	s_andn2_b32 exec_lo, exec_lo, s0
	s_cbranch_execnz .LBB43_53
; %bb.54:
	s_or_b32 exec_lo, exec_lo, s0
	global_load_dword v3, v[0:1], off offset:4
	s_mov_b32 s0, 0
.LBB43_55:                              ; =>This Inner Loop Header: Depth=1
	s_waitcnt vmcnt(0)
	v_pk_add_f16 v2, v9, v3
	global_atomic_cmpswap v2, v[0:1], v[2:3], off offset:4 glc
	s_waitcnt vmcnt(0)
	v_cmp_eq_u32_e32 vcc_lo, v3, v2
	v_mov_b32_e32 v3, v2
	s_or_b32 s0, vcc_lo, s0
	s_andn2_b32 exec_lo, exec_lo, s0
	s_cbranch_execnz .LBB43_55
.LBB43_56:
	s_endpgm
	.section	.rodata,"a",@progbits
	.p2align	6, 0x0
	.amdhsa_kernel _ZN4vllm4gptq33gemm_half_q_half_gptq_2bit_kernelILb1ELi8EEEvPK6__halfPKjS6_S4_PS2_iiiibPKi
		.amdhsa_group_segment_fixed_size 2048
		.amdhsa_private_segment_fixed_size 0
		.amdhsa_kernarg_size 72
		.amdhsa_user_sgpr_count 6
		.amdhsa_user_sgpr_private_segment_buffer 1
		.amdhsa_user_sgpr_dispatch_ptr 0
		.amdhsa_user_sgpr_queue_ptr 0
		.amdhsa_user_sgpr_kernarg_segment_ptr 1
		.amdhsa_user_sgpr_dispatch_id 0
		.amdhsa_user_sgpr_flat_scratch_init 0
		.amdhsa_user_sgpr_private_segment_size 0
		.amdhsa_wavefront_size32 1
		.amdhsa_uses_dynamic_stack 0
		.amdhsa_system_sgpr_private_segment_wavefront_offset 0
		.amdhsa_system_sgpr_workgroup_id_x 1
		.amdhsa_system_sgpr_workgroup_id_y 1
		.amdhsa_system_sgpr_workgroup_id_z 1
		.amdhsa_system_sgpr_workgroup_info 0
		.amdhsa_system_vgpr_workitem_id 0
		.amdhsa_next_free_vgpr 100
		.amdhsa_next_free_sgpr 24
		.amdhsa_reserve_vcc 1
		.amdhsa_reserve_flat_scratch 0
		.amdhsa_float_round_mode_32 0
		.amdhsa_float_round_mode_16_64 0
		.amdhsa_float_denorm_mode_32 3
		.amdhsa_float_denorm_mode_16_64 3
		.amdhsa_dx10_clamp 1
		.amdhsa_ieee_mode 1
		.amdhsa_fp16_overflow 0
		.amdhsa_workgroup_processor_mode 1
		.amdhsa_memory_ordered 1
		.amdhsa_forward_progress 1
		.amdhsa_shared_vgpr_count 0
		.amdhsa_exception_fp_ieee_invalid_op 0
		.amdhsa_exception_fp_denorm_src 0
		.amdhsa_exception_fp_ieee_div_zero 0
		.amdhsa_exception_fp_ieee_overflow 0
		.amdhsa_exception_fp_ieee_underflow 0
		.amdhsa_exception_fp_ieee_inexact 0
		.amdhsa_exception_int_div_zero 0
	.end_amdhsa_kernel
	.section	.text._ZN4vllm4gptq33gemm_half_q_half_gptq_2bit_kernelILb1ELi8EEEvPK6__halfPKjS6_S4_PS2_iiiibPKi,"axG",@progbits,_ZN4vllm4gptq33gemm_half_q_half_gptq_2bit_kernelILb1ELi8EEEvPK6__halfPKjS6_S4_PS2_iiiibPKi,comdat
.Lfunc_end43:
	.size	_ZN4vllm4gptq33gemm_half_q_half_gptq_2bit_kernelILb1ELi8EEEvPK6__halfPKjS6_S4_PS2_iiiibPKi, .Lfunc_end43-_ZN4vllm4gptq33gemm_half_q_half_gptq_2bit_kernelILb1ELi8EEEvPK6__halfPKjS6_S4_PS2_iiiibPKi
                                        ; -- End function
	.set _ZN4vllm4gptq33gemm_half_q_half_gptq_2bit_kernelILb1ELi8EEEvPK6__halfPKjS6_S4_PS2_iiiibPKi.num_vgpr, 100
	.set _ZN4vllm4gptq33gemm_half_q_half_gptq_2bit_kernelILb1ELi8EEEvPK6__halfPKjS6_S4_PS2_iiiibPKi.num_agpr, 0
	.set _ZN4vllm4gptq33gemm_half_q_half_gptq_2bit_kernelILb1ELi8EEEvPK6__halfPKjS6_S4_PS2_iiiibPKi.numbered_sgpr, 24
	.set _ZN4vllm4gptq33gemm_half_q_half_gptq_2bit_kernelILb1ELi8EEEvPK6__halfPKjS6_S4_PS2_iiiibPKi.num_named_barrier, 0
	.set _ZN4vllm4gptq33gemm_half_q_half_gptq_2bit_kernelILb1ELi8EEEvPK6__halfPKjS6_S4_PS2_iiiibPKi.private_seg_size, 0
	.set _ZN4vllm4gptq33gemm_half_q_half_gptq_2bit_kernelILb1ELi8EEEvPK6__halfPKjS6_S4_PS2_iiiibPKi.uses_vcc, 1
	.set _ZN4vllm4gptq33gemm_half_q_half_gptq_2bit_kernelILb1ELi8EEEvPK6__halfPKjS6_S4_PS2_iiiibPKi.uses_flat_scratch, 0
	.set _ZN4vllm4gptq33gemm_half_q_half_gptq_2bit_kernelILb1ELi8EEEvPK6__halfPKjS6_S4_PS2_iiiibPKi.has_dyn_sized_stack, 0
	.set _ZN4vllm4gptq33gemm_half_q_half_gptq_2bit_kernelILb1ELi8EEEvPK6__halfPKjS6_S4_PS2_iiiibPKi.has_recursion, 0
	.set _ZN4vllm4gptq33gemm_half_q_half_gptq_2bit_kernelILb1ELi8EEEvPK6__halfPKjS6_S4_PS2_iiiibPKi.has_indirect_call, 0
	.section	.AMDGPU.csdata,"",@progbits
; Kernel info:
; codeLenInByte = 7312
; TotalNumSgprs: 26
; NumVgprs: 100
; ScratchSize: 0
; MemoryBound: 0
; FloatMode: 240
; IeeeMode: 1
; LDSByteSize: 2048 bytes/workgroup (compile time only)
; SGPRBlocks: 0
; VGPRBlocks: 12
; NumSGPRsForWavesPerEU: 26
; NumVGPRsForWavesPerEU: 100
; Occupancy: 9
; WaveLimiterHint : 0
; COMPUTE_PGM_RSRC2:SCRATCH_EN: 0
; COMPUTE_PGM_RSRC2:USER_SGPR: 6
; COMPUTE_PGM_RSRC2:TRAP_HANDLER: 0
; COMPUTE_PGM_RSRC2:TGID_X_EN: 1
; COMPUTE_PGM_RSRC2:TGID_Y_EN: 1
; COMPUTE_PGM_RSRC2:TGID_Z_EN: 1
; COMPUTE_PGM_RSRC2:TIDIG_COMP_CNT: 0
	.section	.text._ZN4vllm4gptq33gemm_half_q_half_gptq_3bit_kernelILb1ELi8EEEvPK6__halfPKjS6_S4_PS2_iiiibPKi,"axG",@progbits,_ZN4vllm4gptq33gemm_half_q_half_gptq_3bit_kernelILb1ELi8EEEvPK6__halfPKjS6_S4_PS2_iiiibPKi,comdat
	.protected	_ZN4vllm4gptq33gemm_half_q_half_gptq_3bit_kernelILb1ELi8EEEvPK6__halfPKjS6_S4_PS2_iiiibPKi ; -- Begin function _ZN4vllm4gptq33gemm_half_q_half_gptq_3bit_kernelILb1ELi8EEEvPK6__halfPKjS6_S4_PS2_iiiibPKi
	.globl	_ZN4vllm4gptq33gemm_half_q_half_gptq_3bit_kernelILb1ELi8EEEvPK6__halfPKjS6_S4_PS2_iiiibPKi
	.p2align	8
	.type	_ZN4vllm4gptq33gemm_half_q_half_gptq_3bit_kernelILb1ELi8EEEvPK6__halfPKjS6_S4_PS2_iiiibPKi,@function
_ZN4vllm4gptq33gemm_half_q_half_gptq_3bit_kernelILb1ELi8EEEvPK6__halfPKjS6_S4_PS2_iiiibPKi: ; @_ZN4vllm4gptq33gemm_half_q_half_gptq_3bit_kernelILb1ELi8EEEvPK6__halfPKjS6_S4_PS2_iiiibPKi
; %bb.0:
	s_load_dwordx4 s[16:19], s[4:5], 0x2c
	s_mov_b64 s[38:39], s[2:3]
	s_mov_b64 s[36:37], s[0:1]
	s_mov_b32 s22, exec_lo
	s_add_u32 s36, s36, s9
	s_addc_u32 s37, s37, 0
	s_lshl_b32 s20, s8, 7
	s_load_dwordx8 s[8:15], s[4:5], 0x8
	s_add_i32 s0, s20, 0x80
	s_lshl_b32 s7, s7, 3
	v_cvt_f64_u32_e32 v[1:2], s0
	s_waitcnt lgkmcnt(0)
	v_cvt_f64_i32_e32 v[3:4], s17
	v_min_f64 v[1:2], v[1:2], v[3:4]
	v_cvt_i32_f64_e32 v2, v[1:2]
	v_add_nc_u32_e32 v1, s20, v0
	v_readfirstlane_b32 s21, v2
	v_cmpx_lt_u32_e64 v1, v2
	s_cbranch_execz .LBB44_18
; %bb.1:
	s_clause 0x1
	s_load_dwordx2 s[2:3], s[4:5], 0x40
	s_load_dwordx2 s[0:1], s[4:5], 0x0
	v_mov_b32_e32 v2, 0
	v_lshlrev_b64 v[3:4], 2, v[1:2]
	v_mov_b32_e32 v6, v2
	v_mov_b32_e32 v5, v1
	s_waitcnt lgkmcnt(0)
	v_add_co_u32 v3, vcc_lo, s2, v3
	v_add_co_ci_u32_e64 v4, null, s3, v4, vcc_lo
	s_cmp_lg_u64 s[2:3], 0
	s_cselect_b32 s4, -1, 0
	s_cmp_eq_u64 s[2:3], 0
	s_cbranch_scc1 .LBB44_3
; %bb.2:
	global_load_dword v5, v[3:4], off
	s_waitcnt vmcnt(0)
	v_ashrrev_i32_e32 v6, 31, v5
.LBB44_3:
	s_mul_i32 s2, s7, s17
	v_lshlrev_b64 v[5:6], 1, v[5:6]
	s_ashr_i32 s3, s2, 31
	v_cndmask_b32_e64 v8, 0, 1, s4
	s_lshl_b64 s[24:25], s[2:3], 1
	v_lshlrev_b32_e32 v7, 1, v0
	s_add_u32 s3, s0, s24
	s_addc_u32 s5, s1, s25
	v_add_co_u32 v5, vcc_lo, s3, v5
	v_add_co_ci_u32_e64 v6, null, s5, v6, vcc_lo
	s_andn2_b32 vcc_lo, exec_lo, s4
	global_load_ushort v9, v[5:6], off
	v_mov_b32_e32 v6, v2
	v_mov_b32_e32 v5, v1
	s_waitcnt vmcnt(0)
	ds_write_b16 v7, v9
	s_cbranch_vccnz .LBB44_5
; %bb.4:
	global_load_dword v5, v[3:4], off
	s_waitcnt vmcnt(0)
	v_ashrrev_i32_e32 v6, 31, v5
.LBB44_5:
	s_add_i32 s2, s2, s17
	v_lshlrev_b64 v[5:6], 1, v[5:6]
	s_ashr_i32 s3, s2, 31
	s_lshl_b64 s[4:5], s[2:3], 1
	s_add_u32 s3, s0, s4
	s_addc_u32 s4, s1, s5
	v_add_co_u32 v5, vcc_lo, s3, v5
	v_add_co_ci_u32_e64 v6, null, s4, v6, vcc_lo
	v_cmp_ne_u32_e32 vcc_lo, 1, v8
	global_load_ushort v9, v[5:6], off
	v_mov_b32_e32 v6, v2
	v_mov_b32_e32 v5, v1
	s_waitcnt vmcnt(0)
	ds_write_b16 v7, v9 offset:256
	s_cbranch_vccnz .LBB44_7
; %bb.6:
	global_load_dword v5, v[3:4], off
	s_waitcnt vmcnt(0)
	v_ashrrev_i32_e32 v6, 31, v5
.LBB44_7:
	s_add_i32 s2, s2, s17
	v_lshlrev_b64 v[5:6], 1, v[5:6]
	s_ashr_i32 s3, s2, 31
	s_lshl_b64 s[4:5], s[2:3], 1
	s_add_u32 s3, s0, s4
	s_addc_u32 s4, s1, s5
	v_add_co_u32 v5, vcc_lo, s3, v5
	v_add_co_ci_u32_e64 v6, null, s4, v6, vcc_lo
	v_cmp_ne_u32_e32 vcc_lo, 1, v8
	global_load_ushort v9, v[5:6], off
	v_mov_b32_e32 v6, v2
	v_mov_b32_e32 v5, v1
	s_waitcnt vmcnt(0)
	ds_write_b16 v7, v9 offset:512
	;; [unrolled: 20-line block ×5, first 2 shown]
	s_cbranch_vccnz .LBB44_15
; %bb.14:
	global_load_dword v5, v[3:4], off
	s_waitcnt vmcnt(0)
	v_ashrrev_i32_e32 v6, 31, v5
.LBB44_15:
	s_add_i32 s2, s2, s17
	v_lshlrev_b64 v[5:6], 1, v[5:6]
	s_ashr_i32 s3, s2, 31
	s_lshl_b64 s[4:5], s[2:3], 1
	s_add_u32 s3, s0, s4
	s_addc_u32 s4, s1, s5
	v_add_co_u32 v5, vcc_lo, s3, v5
	v_add_co_ci_u32_e64 v6, null, s4, v6, vcc_lo
	v_cmp_ne_u32_e32 vcc_lo, 1, v8
	global_load_ushort v5, v[5:6], off
	s_waitcnt vmcnt(0)
	ds_write_b16 v7, v5 offset:1536
	s_cbranch_vccnz .LBB44_17
; %bb.16:
	global_load_dword v1, v[3:4], off
	s_waitcnt vmcnt(0)
	v_ashrrev_i32_e32 v2, 31, v1
.LBB44_17:
	s_add_i32 s2, s2, s17
	v_lshlrev_b64 v[1:2], 1, v[1:2]
	s_ashr_i32 s3, s2, 31
	s_lshl_b64 s[2:3], s[2:3], 1
	s_add_u32 s0, s0, s2
	s_addc_u32 s1, s1, s3
	v_add_co_u32 v1, vcc_lo, s0, v1
	v_add_co_ci_u32_e64 v2, null, s1, v2, vcc_lo
	global_load_ushort v1, v[1:2], off
	s_waitcnt vmcnt(0)
	ds_write_b16 v7, v1 offset:1792
.LBB44_18:
	s_or_b32 exec_lo, exec_lo, s22
	v_lshlrev_b32_e32 v0, 2, v0
	s_mov_b32 s0, exec_lo
	v_lshl_add_u32 v4, s6, 9, v0
	v_cmpx_gt_i32_e64 s16, v4
	s_cbranch_execz .LBB44_88
; %bb.19:
	s_abs_i32 s0, s18
	s_abs_i32 s3, s17
	v_cvt_f32_u32_e32 v1, s0
	s_sub_i32 s2, 0, s0
	v_and_b32_e32 v2, 28, v0
	s_waitcnt lgkmcnt(0)
	s_barrier
	v_rcp_iflag_f32_e32 v1, v1
	buffer_gl0_inv
	v_cmp_lt_u32_e32 vcc_lo, 4, v2
                                        ; implicit-def: $vgpr3
                                        ; implicit-def: $vgpr0
	v_mul_f32_e32 v1, 0x4f7ffffe, v1
	v_cvt_u32_f32_e32 v1, v1
	v_readfirstlane_b32 s1, v1
	s_mul_i32 s2, s2, s1
	s_mul_hi_u32 s2, s1, s2
	s_add_i32 s1, s1, s2
	s_xor_b32 s2, s17, s18
	s_mul_hi_u32 s1, s3, s1
	s_ashr_i32 s2, s2, 31
	s_mul_i32 s4, s1, s0
	s_sub_i32 s3, s3, s4
	s_add_i32 s4, s1, 1
	s_sub_i32 s5, s3, s0
	s_cmp_ge_u32 s3, s0
	s_cselect_b32 s1, s4, s1
	s_cselect_b32 s3, s5, s3
	s_add_i32 s4, s1, 1
	s_cmp_ge_u32 s3, s0
	s_cselect_b32 s0, s4, s1
	s_xor_b32 s0, s0, s2
	s_sub_i32 s6, s0, s2
	v_cvt_f32_u32_e32 v1, s6
	s_sub_i32 s1, 0, s6
	v_rcp_iflag_f32_e32 v1, v1
	v_mul_f32_e32 v1, 0x4f7ffffe, v1
	v_cvt_u32_f32_e32 v1, v1
	v_readfirstlane_b32 s0, v1
	s_mul_i32 s1, s1, s0
	s_mul_hi_u32 s1, s0, s1
	s_add_i32 s0, s0, s1
	s_mul_hi_u32 s0, s20, s0
	s_mul_i32 s1, s0, s6
	s_add_i32 s2, s0, 1
	s_sub_i32 s1, s20, s1
	s_sub_i32 s3, s1, s6
	s_cmp_ge_u32 s1, s6
	s_cselect_b32 s0, s2, s0
	s_cselect_b32 s1, s3, s1
	s_add_i32 s2, s0, 1
	s_cmp_ge_u32 s1, s6
	s_cselect_b32 s18, s2, s0
	s_and_saveexec_b32 s0, vcc_lo
	s_xor_b32 s1, exec_lo, s0
	s_cbranch_execz .LBB44_33
; %bb.20:
	s_mov_b32 s2, exec_lo
                                        ; implicit-def: $vgpr3
                                        ; implicit-def: $vgpr0
	v_cmpx_ne_u32_e32 8, v2
	s_xor_b32 s2, exec_lo, s2
	s_cbranch_execz .LBB44_30
; %bb.21:
	s_mov_b32 s3, exec_lo
                                        ; implicit-def: $vgpr3
                                        ; implicit-def: $vgpr0
	v_cmpx_lt_u32_e32 16, v2
	s_xor_b32 s3, exec_lo, s3
	s_cbranch_execz .LBB44_27
; %bb.22:
	v_lshl_add_u32 v0, v4, 1, v4
	s_mul_i32 s4, s18, s16
                                        ; implicit-def: $vgpr3
	s_ashr_i32 s0, s4, 31
	s_lshr_b32 s0, s0, 27
	v_ashrrev_i32_e32 v1, 31, v0
	s_add_i32 s0, s4, s0
	s_ashr_i32 s0, s0, 5
	v_lshrrev_b32_e32 v1, 27, v1
	v_add_nc_u32_e32 v0, v0, v1
	v_ashrrev_i32_e32 v0, 5, v0
	v_mad_u64_u32 v[0:1], null, s0, 3, v[0:1]
	v_ashrrev_i32_e32 v1, 31, v0
	v_lshlrev_b64 v[0:1], 2, v[0:1]
	v_add_co_u32 v0, s0, s10, v0
	v_add_co_ci_u32_e64 v1, null, s11, v1, s0
	v_cmp_ne_u32_e64 s0, 20, v2
	global_load_dword v5, v[0:1], off
	s_and_saveexec_b32 s5, s0
	s_xor_b32 s0, exec_lo, s5
	s_cbranch_execz .LBB44_24
; %bb.23:
	v_mad_u32_u24 v0, v2, 3, 0xffffffc0
	s_waitcnt vmcnt(0)
	v_lshrrev_b32_e32 v3, v0, v5
                                        ; implicit-def: $vgpr0_vgpr1
                                        ; implicit-def: $vgpr5
.LBB44_24:
	s_andn2_saveexec_b32 s0, s0
	s_cbranch_execz .LBB44_26
; %bb.25:
	global_load_dword v0, v[0:1], off offset:4
	s_waitcnt vmcnt(0)
	v_alignbit_b32 v0, v0, v5, 28
	v_and_b32_e32 v3, 0xfff, v0
.LBB44_26:
	s_or_b32 exec_lo, exec_lo, s0
	v_mov_b32_e32 v0, s4
.LBB44_27:
	s_andn2_saveexec_b32 s3, s3
	s_cbranch_execz .LBB44_29
; %bb.28:
	v_lshl_add_u32 v0, v4, 1, v4
	s_mul_i32 s4, s18, s16
	s_ashr_i32 s0, s4, 31
	s_lshr_b32 s0, s0, 27
	v_ashrrev_i32_e32 v1, 31, v0
	s_add_i32 s0, s4, s0
	s_ashr_i32 s0, s0, 5
	v_lshrrev_b32_e32 v1, 27, v1
	v_add_nc_u32_e32 v0, v0, v1
	v_ashrrev_i32_e32 v0, 5, v0
	v_mad_u64_u32 v[0:1], null, s0, 3, v[0:1]
	v_ashrrev_i32_e32 v1, 31, v0
	v_lshlrev_b64 v[0:1], 2, v[0:1]
	v_add_co_u32 v0, s0, s10, v0
	v_add_co_ci_u32_e64 v1, null, s11, v1, s0
	global_load_dword v0, v[0:1], off
	v_mad_u32_u24 v1, v2, 3, 0xffffffe0
	s_waitcnt vmcnt(0)
	v_lshrrev_b32_e32 v3, v1, v0
	v_mov_b32_e32 v0, s4
.LBB44_29:
	s_or_b32 exec_lo, exec_lo, s3
.LBB44_30:
	s_andn2_saveexec_b32 s2, s2
	s_cbranch_execz .LBB44_32
; %bb.31:
	v_lshl_add_u32 v0, v4, 1, v4
	s_mul_i32 s3, s18, s16
	s_ashr_i32 s0, s3, 31
	s_lshr_b32 s0, s0, 27
	v_ashrrev_i32_e32 v1, 31, v0
	s_add_i32 s0, s3, s0
	s_ashr_i32 s0, s0, 5
	v_lshrrev_b32_e32 v1, 27, v1
	v_add_nc_u32_e32 v0, v0, v1
	v_ashrrev_i32_e32 v0, 5, v0
	v_mad_u64_u32 v[0:1], null, s0, 3, v[0:1]
	v_ashrrev_i32_e32 v1, 31, v0
	v_lshlrev_b64 v[0:1], 2, v[0:1]
	v_add_co_u32 v0, s0, s10, v0
	v_add_co_ci_u32_e64 v1, null, s11, v1, s0
	global_load_dwordx2 v[0:1], v[0:1], off
	s_waitcnt vmcnt(0)
	v_perm_b32 v0, v0, v1, 0x2010007
	v_and_b32_e32 v3, 0xfff, v0
	v_mov_b32_e32 v0, s3
.LBB44_32:
	s_or_b32 exec_lo, exec_lo, s2
.LBB44_33:
	s_or_saveexec_b32 s1, s1
	v_lshl_add_u32 v1, v4, 1, v4
	s_waitcnt vmcnt(0)
	v_mul_u32_u24_e32 v5, 3, v2
	v_ashrrev_i32_e32 v6, 31, v1
	buffer_store_dword v5, off, s[36:39], 0 offset:8 ; 4-byte Folded Spill
	s_xor_b32 exec_lo, exec_lo, s1
	s_cbranch_execz .LBB44_35
; %bb.34:
	v_lshrrev_b32_e32 v0, 27, v6
	s_mul_i32 s2, s18, s16
	v_mul_u32_u24_e32 v3, 3, v2
	s_ashr_i32 s0, s2, 31
	s_lshr_b32 s0, s0, 27
	v_add_nc_u32_e32 v0, v1, v0
	s_add_i32 s0, s2, s0
	s_ashr_i32 s0, s0, 5
	v_ashrrev_i32_e32 v0, 5, v0
	v_mad_u64_u32 v[7:8], null, s0, 3, v[0:1]
	v_ashrrev_i32_e32 v8, 31, v7
	v_lshlrev_b64 v[7:8], 2, v[7:8]
	v_add_co_u32 v7, s0, s10, v7
	v_add_co_ci_u32_e64 v8, null, s11, v8, s0
	global_load_dword v0, v[7:8], off
	s_waitcnt vmcnt(0)
	v_lshrrev_b32_e32 v3, v3, v0
	v_mov_b32_e32 v0, s2
.LBB44_35:
	s_or_b32 exec_lo, exec_lo, s1
	v_mov_b32_e32 v26, 0
	v_mov_b32_e32 v25, 0
	;; [unrolled: 1-line block ×16, first 2 shown]
	s_cmp_ge_i32 s20, s21
	s_mov_b32 s22, 0
	s_cbranch_scc1 .LBB44_56
; %bb.36:
	v_add_nc_u32_e32 v7, v0, v4
	v_lshrrev_b32_e32 v0, 27, v6
	v_ashrrev_i32_e32 v5, 31, v4
	s_add_i32 s23, s6, s20
	v_bfe_u32 v31, v3, 9, 3
	v_ashrrev_i32_e32 v8, 31, v7
	v_add_nc_u32_e32 v0, v1, v0
	v_bfe_u32 v32, v3, 6, 3
	v_bfe_u32 v33, v3, 3, 3
	v_and_b32_e32 v34, 7, v3
	v_lshlrev_b64 v[7:8], 1, v[7:8]
	v_ashrrev_i32_e32 v0, 5, v0
	v_cmp_lt_u32_e64 s1, 16, v2
	v_cmp_ne_u32_e64 s2, 20, v2
	v_mov_b32_e32 v30, 0x10001
	v_mov_b32_e32 v11, 0
	v_add_co_u32 v7, s0, s12, v7
	v_add_co_ci_u32_e64 v8, null, s13, v8, s0
	s_lshr_b32 s0, s20, 5
	v_mov_b32_e32 v12, 0
	s_mul_i32 s0, s0, s16
	global_load_dwordx2 v[9:10], v[7:8], off
	buffer_store_dword v0, off, s[36:39], 0 ; 4-byte Folded Spill
	buffer_store_dword v1, off, s[36:39], 0 offset:4 ; 4-byte Folded Spill
	v_mad_u32_u24 v0, v2, 3, 0xffffffc0
	s_mul_i32 s4, s0, 3
	v_mov_b32_e32 v13, 0
	s_ashr_i32 s5, s4, 31
	s_bitcmp1_b32 s19, 0
	buffer_store_dword v0, off, s[36:39], 0 offset:16 ; 4-byte Folded Spill
	v_mad_u32_u24 v0, v2, 3, 0xffffffe0
	s_cselect_b32 s0, -1, 0
	s_lshl_b64 s[4:5], s[4:5], 2
	s_xor_b32 s0, s0, -1
	s_ashr_i32 s17, s16, 31
	buffer_store_dword v0, off, s[36:39], 0 offset:12 ; 4-byte Folded Spill
	v_lshlrev_b64 v[0:1], 2, v[4:5]
	s_add_u32 s3, s8, s4
	s_addc_u32 s4, s9, s5
	v_cndmask_b32_e64 v27, 0, 1, s0
	v_cmp_ne_u32_e64 s0, 8, v2
	v_mov_b32_e32 v5, 0
	v_add_co_u32 v7, s3, s3, v0
	v_add_co_ci_u32_e64 v8, null, s4, v1, s3
	v_mov_b32_e32 v14, 0
	v_mov_b32_e32 v15, 0
	;; [unrolled: 1-line block ×12, first 2 shown]
	s_mul_hi_i32 s8, s16, 12
	s_mul_i32 s9, s16, 12
	s_lshl_b64 s[4:5], s[16:17], 2
	s_mov_b32 s17, 0x10001
	s_mov_b32 s19, 0x70007
	s_mov_b32 s24, 0x380038
	s_mov_b32 s25, 0x1c001c0
	s_branch .LBB44_39
.LBB44_37:                              ;   in Loop: Header=BB44_39 Depth=1
	s_or_b32 exec_lo, exec_lo, s3
	v_add_nc_u32_e32 v0, s26, v4
	v_and_b32_e32 v34, 7, v2
	v_bfe_u32 v33, v2, 3, 3
	v_bfe_u32 v32, v2, 6, 3
	;; [unrolled: 1-line block ×3, first 2 shown]
	v_ashrrev_i32_e32 v1, 31, v0
	s_add_i32 s23, s23, s6
	v_lshlrev_b64 v[0:1], 1, v[0:1]
	v_add_co_u32 v0, s3, s12, v0
	v_add_co_ci_u32_e64 v1, null, s13, v1, s3
	global_load_dwordx2 v[9:10], v[0:1], off
.LBB44_38:                              ;   in Loop: Header=BB44_39 Depth=1
	v_add_co_u32 v28, s3, v7, s4
	v_add_co_ci_u32_e64 v29, null, s5, v8, s3
	global_load_dwordx4 v[0:3], v[7:8], off
	s_add_i32 s20, s20, 32
	global_load_dwordx4 v[41:44], v[28:29], off
	v_add_co_u32 v28, s3, v28, s4
	v_add_co_ci_u32_e64 v29, null, s5, v29, s3
	s_add_i32 s3, s22, 0x400
	global_load_dwordx4 v[47:50], v[28:29], off
	v_add_nc_u32_e32 v28, v34, v27
	v_cvt_f32_u32_e32 v29, v28
	v_mad_u32_u24 v53, v28, s17, 0xe400e400
	v_add_nc_u32_e32 v28, v33, v27
	v_cvt_f16_f32_e32 v75, v29
	v_cvt_f32_u32_e32 v54, v28
	v_mad_u32_u24 v52, v28, s17, 0xe400e400
	v_add_nc_u32_e32 v28, v32, v27
	v_cvt_f16_f32_e32 v76, v54
	;; [unrolled: 4-line block ×3, first 2 shown]
	v_cvt_f32_u32_e32 v29, v28
	v_cvt_f16_f32_e32 v78, v29
	s_waitcnt vmcnt(2)
	v_and_or_b32 v86, v1, s19, 0x64006400
	v_and_or_b32 v87, v1, s24, 0x64006400
	v_lshrrev_b32_e32 v73, 6, v1
	v_lshrrev_b32_e32 v36, 15, v1
	s_waitcnt vmcnt(1)
	v_and_or_b32 v81, v42, s19, 0x64006400
	v_and_or_b32 v1, v42, s24, 0x64006400
	v_lshrrev_b32_e32 v67, 6, v42
	v_lshrrev_b32_e32 v40, 14, v42
	v_and_or_b32 v82, v43, s19, 0x64006400
	v_and_or_b32 v70, v43, s24, 0x64006400
	v_lshrrev_b32_e32 v68, 6, v43
	v_lshrrev_b32_e32 v39, 14, v43
	;; [unrolled: 4-line block ×3, first 2 shown]
	s_waitcnt vmcnt(0)
	v_and_or_b32 v60, v48, s19, 0x64006400
	v_and_or_b32 v61, v48, s24, 0x64006400
	v_lshrrev_b32_e32 v43, 6, v48
	v_lshrrev_b32_e32 v46, 13, v48
	v_and_or_b32 v62, v49, s19, 0x64006400
	v_and_or_b32 v63, v49, s24, 0x64006400
	v_lshrrev_b32_e32 v42, 6, v49
	v_lshrrev_b32_e32 v44, 13, v49
	;; [unrolled: 4-line block ×3, first 2 shown]
	v_mad_u32_u24 v50, v28, s17, 0xe400e400
	v_sub_f16_e32 v28, 0xd800, v75
	v_and_or_b32 v6, v2, s19, 0x64006400
	v_and_or_b32 v22, v2, s24, 0x64006400
	v_lshrrev_b32_e32 v74, 6, v2
	v_lshrrev_b32_e32 v37, 15, v2
	v_mul_u32_u24_sdwa v54, v28, v30 dst_sel:DWORD dst_unused:UNUSED_PAD src0_sel:WORD_0 src1_sel:DWORD
	v_sub_f16_e32 v28, 0xd800, v76
	v_and_or_b32 v2, v3, s19, 0x64006400
	v_and_or_b32 v84, v0, s19, 0x64006400
	v_and_or_b32 v85, v0, s24, 0x64006400
	v_pk_add_f16 v107, v52, v86
	v_mul_u32_u24_sdwa v55, v28, v30 dst_sel:DWORD dst_unused:UNUSED_PAD src0_sel:WORD_0 src1_sel:DWORD
	v_sub_f16_e32 v28, 0xd800, v77
	v_pk_add_f16 v116, v50, v2
	v_mov_b32_e32 v2, s22
	v_and_or_b32 v88, v3, s24, 0x64006400
	v_pk_add_f16 v91, v53, v84
	v_mul_u32_u24_sdwa v56, v28, v30 dst_sel:DWORD dst_unused:UNUSED_PAD src0_sel:WORD_0 src1_sel:DWORD
	v_sub_f16_e32 v28, 0xd800, v78
	v_pk_fma_f16 v99, 0x3000, v85, v54 op_sel_hi:[0,1,1]
	v_pk_fma_f16 v115, 0x3000, v87, v55 op_sel_hi:[0,1,1]
	v_pk_add_f16 v6, v51, v6
	v_pk_fma_f16 v22, 0x3000, v22, v56 op_sel_hi:[0,1,1]
	v_mul_u32_u24_sdwa v57, v28, v30 dst_sel:DWORD dst_unused:UNUSED_PAD src0_sel:WORD_0 src1_sel:DWORD
	ds_read2_b32 v[28:29], v2 offset1:1
	v_lshrrev_b32_e32 v72, 6, v0
	v_lshrrev_b32_e32 v79, 6, v3
	v_and_or_b32 v80, v41, s19, 0x64006400
	v_pk_fma_f16 v117, 0x3000, v88, v57 op_sel_hi:[0,1,1]
	v_pk_add_f16 v82, v51, v82
	v_pk_add_f16 v83, v50, v83
	v_lshrrev_b32_e32 v35, 15, v0
	v_and_or_b32 v0, v41, s24, 0x64006400
	v_lshrrev_b32_e32 v66, 6, v41
	v_pk_fma_f16 v71, 0x3000, v71, v57 op_sel_hi:[0,1,1]
	v_and_or_b32 v58, v47, s19, 0x64006400
	v_and_or_b32 v59, v47, s24, 0x64006400
	v_pk_add_f16 v62, v51, v62
	v_lshrrev_b32_e32 v45, 6, v47
	v_lshrrev_b32_e32 v41, 14, v41
	v_lshrrev_b32_e32 v47, 13, v47
	v_lshrrev_b32_e32 v3, 15, v3
	s_waitcnt lgkmcnt(0)
	v_pk_fma_f16 v85, v107, v28, 0
	v_pk_fma_f16 v84, v91, v28, 0
	v_pk_fma_f16 v92, v115, v29, v85
	v_pk_fma_f16 v85, v6, v28, 0
	v_pk_fma_f16 v28, v116, v28, 0
	v_pk_fma_f16 v84, v99, v29, v84
	v_pk_fma_f16 v100, v22, v29, v85
	v_pk_fma_f16 v108, v117, v29, v28
	ds_read2_b32 v[28:29], v2 offset0:64 offset1:65
	s_waitcnt lgkmcnt(0)
	v_pk_fma_f16 v86, v107, v28, 0
	v_pk_fma_f16 v85, v91, v28, 0
	v_pk_fma_f16 v93, v115, v29, v86
	v_pk_fma_f16 v86, v6, v28, 0
	v_pk_fma_f16 v28, v116, v28, 0
	v_pk_fma_f16 v85, v99, v29, v85
	v_pk_fma_f16 v101, v22, v29, v86
	v_pk_fma_f16 v109, v117, v29, v28
	ds_read2_b32 v[28:29], v2 offset0:128 offset1:129
	;; [unrolled: 10-line block ×3, first 2 shown]
	s_waitcnt lgkmcnt(0)
	v_pk_fma_f16 v88, v107, v28, 0
	v_pk_fma_f16 v87, v91, v28, 0
	v_pk_fma_f16 v95, v115, v29, v88
	v_pk_fma_f16 v88, v6, v28, 0
	v_pk_fma_f16 v28, v116, v28, 0
	v_pk_fma_f16 v87, v99, v29, v87
	v_pk_fma_f16 v103, v22, v29, v88
	v_pk_fma_f16 v111, v117, v29, v28
	v_mov_b32_e32 v28, s3
	s_add_i32 s3, s22, 0x500
	ds_read2_b32 v[28:29], v28 offset1:1
	s_waitcnt lgkmcnt(0)
	v_pk_fma_f16 v89, v107, v28, 0
	v_pk_fma_f16 v88, v91, v28, 0
	v_pk_fma_f16 v96, v115, v29, v89
	v_pk_fma_f16 v89, v6, v28, 0
	v_pk_fma_f16 v28, v116, v28, 0
	v_pk_fma_f16 v88, v99, v29, v88
	v_pk_fma_f16 v104, v22, v29, v89
	v_pk_fma_f16 v112, v117, v29, v28
	v_mov_b32_e32 v28, s3
	s_add_i32 s3, s22, 0x600
	ds_read2_b32 v[28:29], v28 offset1:1
	;; [unrolled: 12-line block ×4, first 2 shown]
	s_waitcnt lgkmcnt(0)
	v_pk_fma_f16 v91, v91, v28, 0
	v_pk_fma_f16 v6, v6, v28, 0
	;; [unrolled: 1-line block ×8, first 2 shown]
	v_and_or_b32 v6, v72, s19, 0x64006400
	ds_read2_b32 v[28:29], v2 offset0:2 offset1:3
	v_pk_add_f16 v117, v53, v6
	v_and_or_b32 v6, v72, s24, 0x64006400
	v_pk_fma_f16 v116, 0x3000, v6, v54 op_sel_hi:[0,1,1]
	v_and_or_b32 v6, v73, s19, 0x64006400
	v_pk_add_f16 v119, v52, v6
	v_and_or_b32 v6, v73, s24, 0x64006400
	v_and_or_b32 v73, v73, s25, 0x64006400
	s_waitcnt lgkmcnt(0)
	v_pk_fma_f16 v22, v119, v28, v92
	v_pk_fma_f16 v118, 0x3000, v6, v55 op_sel_hi:[0,1,1]
	v_and_or_b32 v6, v74, s19, 0x64006400
	v_pk_fma_f16 v92, v118, v29, v22
	v_pk_add_f16 v121, v51, v6
	v_and_or_b32 v6, v74, s24, 0x64006400
	v_pk_fma_f16 v100, v121, v28, v100
	v_pk_fma_f16 v120, 0x3000, v6, v56 op_sel_hi:[0,1,1]
	v_and_or_b32 v6, v79, s19, 0x64006400
	v_pk_fma_f16 v100, v120, v29, v100
	v_pk_add_f16 v123, v50, v6
	v_and_or_b32 v6, v79, s24, 0x64006400
	v_and_or_b32 v79, v79, s25, 0x64006400
	v_pk_fma_f16 v122, 0x3000, v6, v57 op_sel_hi:[0,1,1]
	v_pk_fma_f16 v6, v117, v28, v84
	v_pk_fma_f16 v28, v123, v28, v108
	v_pk_fma_f16 v84, v116, v29, v6
	v_pk_fma_f16 v108, v122, v29, v28
	ds_read2_b32 v[28:29], v2 offset0:66 offset1:67
	s_waitcnt lgkmcnt(0)
	v_pk_fma_f16 v6, v117, v28, v85
	v_pk_fma_f16 v22, v119, v28, v93
	v_pk_fma_f16 v101, v121, v28, v101
	v_pk_fma_f16 v28, v123, v28, v109
	v_pk_fma_f16 v85, v116, v29, v6
	v_pk_fma_f16 v93, v118, v29, v22
	v_pk_fma_f16 v101, v120, v29, v101
	v_pk_fma_f16 v109, v122, v29, v28
	ds_read2_b32 v[28:29], v2 offset0:130 offset1:131
	s_waitcnt lgkmcnt(0)
	v_pk_fma_f16 v6, v117, v28, v86
	v_pk_fma_f16 v22, v119, v28, v94
	v_pk_fma_f16 v102, v121, v28, v102
	v_pk_fma_f16 v28, v123, v28, v110
	;; [unrolled: 10-line block ×3, first 2 shown]
	v_pk_fma_f16 v87, v116, v29, v6
	v_mov_b32_e32 v6, s3
	v_pk_fma_f16 v103, v118, v29, v22
	v_pk_fma_f16 v111, v120, v29, v95
	;; [unrolled: 1-line block ×3, first 2 shown]
	s_add_i32 s3, s22, 0x508
	ds_read2_b32 v[28:29], v6 offset1:1
	s_waitcnt lgkmcnt(0)
	v_pk_fma_f16 v6, v117, v28, v88
	v_pk_fma_f16 v22, v119, v28, v96
	;; [unrolled: 1-line block ×5, first 2 shown]
	v_mov_b32_e32 v6, s3
	v_pk_fma_f16 v104, v118, v29, v22
	v_pk_fma_f16 v112, v120, v29, v95
	;; [unrolled: 1-line block ×3, first 2 shown]
	s_add_i32 s3, s22, 0x608
	ds_read2_b32 v[28:29], v6 offset1:1
	s_waitcnt lgkmcnt(0)
	v_pk_fma_f16 v6, v117, v28, v89
	v_pk_fma_f16 v95, v121, v28, v105
	;; [unrolled: 1-line block ×5, first 2 shown]
	v_mov_b32_e32 v6, s3
	v_pk_fma_f16 v126, v120, v29, v95
	s_add_i32 s3, s22, 0x708
	v_pk_fma_f16 v113, v118, v29, v22
	v_pk_fma_f16 v127, v122, v29, v28
	ds_read2_b32 v[95:96], v6 offset1:1
	s_waitcnt lgkmcnt(0)
	v_pk_fma_f16 v6, v117, v95, v90
	v_pk_fma_f16 v22, v119, v95, v98
	;; [unrolled: 1-line block ×5, first 2 shown]
	v_mov_b32_e32 v6, s3
	v_pk_fma_f16 v28, v118, v96, v22
	v_pk_fma_f16 v29, v120, v96, v29
	;; [unrolled: 1-line block ×3, first 2 shown]
	s_add_i32 s3, s22, 0x410
	ds_read2_b32 v[95:96], v6 offset1:1
	s_waitcnt lgkmcnt(0)
	v_pk_fma_f16 v6, v117, v95, v91
	v_pk_fma_f16 v90, v119, v95, v99
	;; [unrolled: 1-line block ×6, first 2 shown]
	v_sub_f16_e32 v6, 0xcc00, v75
	v_sub_f16_e32 v75, 0xcc00, v76
	v_sub_f16_e32 v90, 0xcc00, v78
	v_sub_f16_e32 v76, 0xcc00, v77
	v_pk_fma_f16 v117, v120, v96, v91
	v_mul_u32_u24_sdwa v78, v6, v30 dst_sel:DWORD dst_unused:UNUSED_PAD src0_sel:WORD_0 src1_sel:DWORD
	v_mul_u32_u24_sdwa v77, v75, v30 dst_sel:DWORD dst_unused:UNUSED_PAD src0_sel:WORD_0 src1_sel:DWORD
	;; [unrolled: 1-line block ×3, first 2 shown]
	v_and_or_b32 v6, v72, s25, 0x64006400
	v_and_or_b32 v90, v74, s25, 0x64006400
	v_mul_u32_u24_sdwa v76, v76, v30 dst_sel:DWORD dst_unused:UNUSED_PAD src0_sel:WORD_0 src1_sel:DWORD
	v_pk_fma_f16 v74, 0x2400, v73, v77 op_sel_hi:[0,1,1]
	v_pk_add_f16 v73, v53, v80
	v_pk_fma_f16 v72, 0x2400, v6, v78 op_sel_hi:[0,1,1]
	v_pk_fma_f16 v6, 0x2400, v79, v75 op_sel_hi:[0,1,1]
	v_pk_add_f16 v79, v52, v81
	ds_read2_b32 v[80:81], v2 offset0:4 offset1:5
	v_pk_fma_f16 v123, 0x2400, v90, v76 op_sel_hi:[0,1,1]
	v_pk_fma_f16 v118, v122, v96, v95
	s_waitcnt lgkmcnt(0)
	v_pk_fma_f16 v84, v72, v80, v84
	v_pk_fma_f16 v90, v74, v80, v92
	v_pk_fma_f16 v91, v123, v80, v100
	v_pk_fma_f16 v80, v6, v80, v108
	v_pk_fma_f16 v119, v73, v81, v84
	v_pk_fma_f16 v120, v79, v81, v90
	v_pk_fma_f16 v121, v82, v81, v91
	v_pk_fma_f16 v122, v83, v81, v80
	ds_read2_b32 v[80:81], v2 offset0:68 offset1:69
	s_waitcnt lgkmcnt(0)
	v_pk_fma_f16 v84, v72, v80, v85
	v_pk_fma_f16 v85, v74, v80, v93
	v_pk_fma_f16 v92, v123, v80, v101
	v_pk_fma_f16 v80, v6, v80, v109
	v_pk_fma_f16 v90, v73, v81, v84
	v_pk_fma_f16 v91, v79, v81, v85
	v_pk_fma_f16 v92, v82, v81, v92
	v_pk_fma_f16 v93, v83, v81, v80
	ds_read2_b32 v[80:81], v2 offset0:132 offset1:133
	;; [unrolled: 10-line block ×3, first 2 shown]
	s_waitcnt lgkmcnt(0)
	v_pk_fma_f16 v84, v72, v80, v87
	v_pk_fma_f16 v85, v74, v80, v103
	;; [unrolled: 1-line block ×8, first 2 shown]
	v_mov_b32_e32 v80, s3
	s_add_i32 s3, s22, 0x510
	ds_read2_b32 v[80:81], v80 offset1:1
	s_waitcnt lgkmcnt(0)
	v_pk_fma_f16 v84, v72, v80, v88
	v_pk_fma_f16 v85, v74, v80, v104
	;; [unrolled: 1-line block ×8, first 2 shown]
	v_mov_b32_e32 v80, s3
	s_add_i32 s3, s22, 0x610
	ds_read2_b32 v[80:81], v80 offset1:1
	s_waitcnt lgkmcnt(0)
	v_pk_fma_f16 v84, v72, v80, v89
	v_pk_fma_f16 v85, v74, v80, v113
	;; [unrolled: 1-line block ×8, first 2 shown]
	v_mov_b32_e32 v80, s3
	s_add_i32 s3, s22, 0x710
	v_pk_fma_f16 v85, 0x3000, v70, v56 op_sel_hi:[0,1,1]
	ds_read2_b32 v[80:81], v80 offset1:1
	s_waitcnt lgkmcnt(0)
	v_pk_fma_f16 v22, v6, v80, v22
	v_pk_fma_f16 v28, v74, v80, v28
	;; [unrolled: 1-line block ×5, first 2 shown]
	v_mov_b32_e32 v22, s3
	v_pk_fma_f16 v111, v79, v81, v28
	v_pk_fma_f16 v112, v82, v81, v29
	;; [unrolled: 1-line block ×3, first 2 shown]
	v_pk_fma_f16 v84, 0x3000, v1, v55 op_sel_hi:[0,1,1]
	ds_read2_b32 v[28:29], v22 offset1:1
	s_add_i32 s3, s22, 0x418
	s_waitcnt lgkmcnt(0)
	v_pk_fma_f16 v22, v72, v28, v115
	v_pk_fma_f16 v72, v74, v28, v116
	;; [unrolled: 1-line block ×7, first 2 shown]
	v_pk_fma_f16 v83, 0x3000, v0, v54 op_sel_hi:[0,1,1]
	v_and_or_b32 v0, v66, s19, 0x64006400
	v_pk_fma_f16 v82, v82, v29, v74
	v_and_or_b32 v29, v69, s24, 0x64006400
	v_pk_add_f16 v73, v53, v0
	v_and_or_b32 v0, v67, s19, 0x64006400
	v_pk_add_f16 v74, v52, v0
	;; [unrolled: 2-line block ×4, first 2 shown]
	ds_read2_b32 v[0:1], v2 offset0:6 offset1:7
	s_waitcnt lgkmcnt(0)
	v_pk_fma_f16 v6, v83, v0, v119
	v_pk_fma_f16 v22, v84, v0, v120
	;; [unrolled: 1-line block ×4, first 2 shown]
	v_pk_fma_f16 v122, 0x3000, v29, v57 op_sel_hi:[0,1,1]
	v_pk_fma_f16 v86, v73, v1, v6
	v_pk_fma_f16 v87, v74, v1, v22
	v_pk_fma_f16 v88, v79, v1, v28
	v_pk_fma_f16 v89, v70, v1, v0
	ds_read2_b32 v[0:1], v2 offset0:70 offset1:71
	s_waitcnt lgkmcnt(0)
	v_pk_fma_f16 v6, v83, v0, v90
	v_pk_fma_f16 v22, v84, v0, v91
	v_pk_fma_f16 v28, v85, v0, v92
	v_pk_fma_f16 v0, v71, v0, v93
	v_pk_fma_f16 v90, v73, v1, v6
	v_pk_fma_f16 v91, v74, v1, v22
	v_pk_fma_f16 v92, v79, v1, v28
	v_pk_fma_f16 v93, v70, v1, v0
	ds_read2_b32 v[0:1], v2 offset0:134 offset1:135
	s_waitcnt lgkmcnt(0)
	v_pk_fma_f16 v6, v83, v0, v94
	v_pk_fma_f16 v22, v84, v0, v95
	v_pk_fma_f16 v28, v85, v0, v96
	v_pk_fma_f16 v0, v71, v0, v97
	;; [unrolled: 10-line block ×3, first 2 shown]
	v_pk_fma_f16 v98, v73, v1, v6
	v_pk_fma_f16 v99, v74, v1, v22
	v_pk_fma_f16 v100, v79, v1, v28
	v_pk_fma_f16 v101, v70, v1, v0
	v_mov_b32_e32 v0, s3
	s_add_i32 s3, s22, 0x518
	ds_read2_b32 v[0:1], v0 offset1:1
	s_waitcnt lgkmcnt(0)
	v_pk_fma_f16 v6, v83, v0, v102
	v_pk_fma_f16 v22, v84, v0, v103
	v_pk_fma_f16 v28, v85, v0, v104
	v_pk_fma_f16 v0, v71, v0, v105
	v_pk_fma_f16 v102, v73, v1, v6
	v_pk_fma_f16 v103, v74, v1, v22
	v_pk_fma_f16 v104, v79, v1, v28
	v_pk_fma_f16 v105, v70, v1, v0
	v_mov_b32_e32 v0, s3
	s_add_i32 s3, s22, 0x618
	ds_read2_b32 v[0:1], v0 offset1:1
	s_waitcnt lgkmcnt(0)
	v_pk_fma_f16 v6, v83, v0, v106
	v_pk_fma_f16 v22, v84, v0, v107
	v_pk_fma_f16 v28, v85, v0, v108
	v_pk_fma_f16 v0, v71, v0, v109
	;; [unrolled: 12-line block ×4, first 2 shown]
	v_pk_fma_f16 v114, v79, v1, v28
	v_and_or_b32 v28, v68, s25, 0x64006400
	v_pk_fma_f16 v6, v73, v1, v6
	v_pk_fma_f16 v115, v70, v1, v0
	v_and_or_b32 v0, v66, s24, 0x64006400
	v_pk_fma_f16 v22, v74, v1, v22
	v_pk_fma_f16 v121, 0x2400, v28, v76 op_sel_hi:[0,1,1]
	ds_read2_b32 v[28:29], v2 offset0:8 offset1:9
	v_and_or_b32 v1, v66, s25, 0x64006400
	v_pk_fma_f16 v116, 0x3000, v0, v54 op_sel_hi:[0,1,1]
	v_and_or_b32 v0, v67, s24, 0x64006400
	v_and_or_b32 v66, v69, s25, 0x64006400
	v_pk_fma_f16 v117, 0x2400, v1, v78 op_sel_hi:[0,1,1]
	v_and_or_b32 v1, v67, s25, 0x64006400
	v_pk_fma_f16 v118, 0x3000, v0, v55 op_sel_hi:[0,1,1]
	;; [unrolled: 2-line block ×3, first 2 shown]
	v_pk_fma_f16 v119, 0x2400, v1, v77 op_sel_hi:[0,1,1]
	v_pk_fma_f16 v120, 0x3000, v0, v56 op_sel_hi:[0,1,1]
	s_waitcnt lgkmcnt(0)
	v_pk_fma_f16 v0, v116, v28, v86
	v_pk_fma_f16 v1, v118, v28, v87
	v_pk_fma_f16 v66, v120, v28, v88
	v_pk_fma_f16 v28, v122, v28, v89
	v_pk_fma_f16 v0, v117, v29, v0
	v_pk_fma_f16 v1, v119, v29, v1
	v_pk_fma_f16 v66, v121, v29, v66
	v_pk_fma_f16 v67, v123, v29, v28
	ds_read2_b32 v[28:29], v2 offset0:72 offset1:73
	s_waitcnt lgkmcnt(0)
	v_pk_fma_f16 v68, v116, v28, v90
	v_pk_fma_f16 v69, v118, v28, v91
	v_pk_fma_f16 v70, v120, v28, v92
	v_pk_fma_f16 v28, v122, v28, v93
	v_pk_fma_f16 v68, v117, v29, v68
	v_pk_fma_f16 v69, v119, v29, v69
	v_pk_fma_f16 v70, v121, v29, v70
	v_pk_fma_f16 v71, v123, v29, v28
	ds_read2_b32 v[28:29], v2 offset0:136 offset1:137
	;; [unrolled: 10-line block ×3, first 2 shown]
	s_waitcnt lgkmcnt(0)
	v_pk_fma_f16 v80, v116, v28, v98
	v_pk_fma_f16 v81, v118, v28, v99
	;; [unrolled: 1-line block ×4, first 2 shown]
	v_pk_add_f16 v100, v53, v58
	v_pk_fma_f16 v80, v117, v29, v80
	v_pk_fma_f16 v81, v119, v29, v81
	;; [unrolled: 1-line block ×4, first 2 shown]
	v_mov_b32_e32 v28, s3
	s_add_i32 s3, s22, 0x520
	v_pk_fma_f16 v58, 0x3000, v59, v54 op_sel_hi:[0,1,1]
	v_pk_add_f16 v101, v52, v60
	v_pk_fma_f16 v59, 0x3000, v61, v55 op_sel_hi:[0,1,1]
	ds_read2_b32 v[28:29], v28 offset1:1
	v_pk_fma_f16 v60, 0x3000, v63, v56 op_sel_hi:[0,1,1]
	v_pk_add_f16 v63, v50, v64
	v_pk_fma_f16 v61, 0x3000, v65, v57 op_sel_hi:[0,1,1]
	ds_read2_b32 v[64:65], v2 offset0:74 offset1:75
	s_waitcnt lgkmcnt(1)
	v_pk_fma_f16 v84, v116, v28, v102
	v_pk_fma_f16 v85, v118, v28, v103
	v_pk_fma_f16 v86, v120, v28, v104
	v_pk_fma_f16 v28, v122, v28, v105
	v_pk_fma_f16 v84, v117, v29, v84
	v_pk_fma_f16 v85, v119, v29, v85
	v_pk_fma_f16 v86, v121, v29, v86
	v_pk_fma_f16 v87, v123, v29, v28
	v_mov_b32_e32 v28, s3
	s_add_i32 s3, s22, 0x620
	ds_read2_b32 v[28:29], v28 offset1:1
	s_waitcnt lgkmcnt(0)
	v_pk_fma_f16 v88, v116, v28, v106
	v_pk_fma_f16 v89, v118, v28, v107
	v_pk_fma_f16 v90, v120, v28, v108
	v_pk_fma_f16 v28, v122, v28, v109
	v_pk_fma_f16 v88, v117, v29, v88
	v_pk_fma_f16 v89, v119, v29, v89
	v_pk_fma_f16 v90, v121, v29, v90
	v_pk_fma_f16 v91, v123, v29, v28
	v_mov_b32_e32 v28, s3
	s_add_i32 s3, s22, 0x720
	ds_read2_b32 v[28:29], v28 offset1:1
	;; [unrolled: 12-line block ×3, first 2 shown]
	s_waitcnt lgkmcnt(0)
	v_pk_fma_f16 v6, v116, v28, v6
	v_pk_fma_f16 v22, v118, v28, v22
	;; [unrolled: 1-line block ×8, first 2 shown]
	ds_read2_b32 v[28:29], v2 offset0:10 offset1:11
	s_waitcnt lgkmcnt(0)
	v_pk_fma_f16 v0, v100, v28, v0
	v_pk_fma_f16 v1, v101, v28, v1
	;; [unrolled: 1-line block ×10, first 2 shown]
	ds_read2_b32 v[68:69], v2 offset0:138 offset1:139
	v_pk_fma_f16 v66, v62, v64, v70
	v_pk_fma_f16 v67, v63, v64, v71
	;; [unrolled: 1-line block ×6, first 2 shown]
	s_waitcnt lgkmcnt(0)
	v_pk_fma_f16 v66, v100, v68, v72
	v_pk_fma_f16 v67, v101, v68, v73
	;; [unrolled: 1-line block ×8, first 2 shown]
	ds_read2_b32 v[71:72], v2 offset0:202 offset1:203
	s_waitcnt lgkmcnt(0)
	v_pk_fma_f16 v70, v100, v71, v80
	v_pk_fma_f16 v73, v101, v71, v81
	v_pk_fma_f16 v74, v62, v71, v82
	v_pk_fma_f16 v79, v63, v71, v83
	v_pk_fma_f16 v70, v58, v72, v70
	v_pk_fma_f16 v71, v59, v72, v73
	v_pk_fma_f16 v102, v60, v72, v74
	v_pk_fma_f16 v103, v61, v72, v79
	v_mov_b32_e32 v72, s3
	s_add_i32 s3, s22, 0x528
	ds_read2_b32 v[72:73], v72 offset1:1
	s_waitcnt lgkmcnt(0)
	v_pk_fma_f16 v74, v100, v72, v84
	v_pk_fma_f16 v79, v101, v72, v85
	v_pk_fma_f16 v80, v62, v72, v86
	v_pk_fma_f16 v72, v63, v72, v87
	v_pk_fma_f16 v104, v58, v73, v74
	v_pk_fma_f16 v105, v59, v73, v79
	v_pk_fma_f16 v106, v60, v73, v80
	v_pk_fma_f16 v107, v61, v73, v72
	v_mov_b32_e32 v72, s3
	s_add_i32 s3, s22, 0x628
	ds_read2_b32 v[72:73], v72 offset1:1
	;; [unrolled: 12-line block ×4, first 2 shown]
	s_waitcnt lgkmcnt(0)
	v_pk_fma_f16 v74, v100, v72, v96
	v_pk_fma_f16 v79, v101, v72, v97
	;; [unrolled: 1-line block ×5, first 2 shown]
	v_and_or_b32 v58, v45, s24, 0x64006400
	v_pk_fma_f16 v97, v59, v73, v79
	v_pk_fma_f16 v98, v60, v73, v62
	;; [unrolled: 1-line block ×3, first 2 shown]
	v_pk_fma_f16 v100, 0x3000, v58, v54 op_sel_hi:[0,1,1]
	v_and_or_b32 v54, v43, s24, 0x64006400
	v_pk_fma_f16 v101, 0x3000, v54, v55 op_sel_hi:[0,1,1]
	v_and_or_b32 v54, v42, s24, 0x64006400
	;; [unrolled: 2-line block ×4, first 2 shown]
	v_pk_add_f16 v110, v53, v54
	v_and_or_b32 v54, v43, s19, 0x64006400
	v_pk_add_f16 v111, v52, v54
	v_and_or_b32 v54, v42, s19, 0x64006400
	;; [unrolled: 2-line block ×3, first 2 shown]
	v_pk_add_f16 v113, v50, v54
	ds_read2_b32 v[54:55], v2 offset0:12 offset1:13
	s_waitcnt lgkmcnt(0)
	v_pk_fma_f16 v0, v110, v54, v0
	v_pk_fma_f16 v1, v111, v54, v1
	;; [unrolled: 1-line block ×6, first 2 shown]
	ds_read2_b32 v[0:1], v2 offset0:76 offset1:77
	v_pk_fma_f16 v86, v108, v55, v6
	v_pk_fma_f16 v87, v109, v55, v22
	s_waitcnt lgkmcnt(0)
	v_pk_fma_f16 v6, v110, v0, v28
	v_pk_fma_f16 v22, v111, v0, v29
	;; [unrolled: 1-line block ×8, first 2 shown]
	ds_read2_b32 v[0:1], v2 offset0:140 offset1:141
	s_waitcnt lgkmcnt(0)
	v_pk_fma_f16 v6, v110, v0, v66
	v_pk_fma_f16 v22, v111, v0, v67
	;; [unrolled: 1-line block ×8, first 2 shown]
	ds_read2_b32 v[0:1], v2 offset0:204 offset1:205
	s_waitcnt lgkmcnt(0)
	v_pk_fma_f16 v6, v110, v0, v70
	v_pk_fma_f16 v22, v111, v0, v71
	v_pk_fma_f16 v28, v112, v0, v102
	v_pk_fma_f16 v0, v113, v0, v103
	v_pk_fma_f16 v68, v100, v1, v6
	v_pk_fma_f16 v69, v101, v1, v22
	v_pk_fma_f16 v70, v108, v1, v28
	v_pk_fma_f16 v71, v109, v1, v0
	v_mov_b32_e32 v0, s3
	s_add_i32 s3, s22, 0x530
	ds_read2_b32 v[0:1], v0 offset1:1
	s_waitcnt lgkmcnt(0)
	v_pk_fma_f16 v6, v110, v0, v104
	v_pk_fma_f16 v22, v111, v0, v105
	v_pk_fma_f16 v28, v112, v0, v106
	v_pk_fma_f16 v0, v113, v0, v107
	v_pk_fma_f16 v64, v100, v1, v6
	v_pk_fma_f16 v65, v101, v1, v22
	v_pk_fma_f16 v66, v108, v1, v28
	v_pk_fma_f16 v67, v109, v1, v0
	v_mov_b32_e32 v0, s3
	s_add_i32 s3, s22, 0x630
	ds_read2_b32 v[0:1], v0 offset1:1
	;; [unrolled: 12-line block ×4, first 2 shown]
	s_waitcnt lgkmcnt(0)
	v_pk_fma_f16 v6, v112, v28, v98
	v_pk_fma_f16 v22, v113, v28, v99
	v_pk_fma_f16 v0, v110, v28, v96
	v_pk_fma_f16 v1, v111, v28, v97
	v_pk_fma_f16 v54, v108, v29, v6
	v_and_b32_e32 v6, 0x20002, v41
	v_pk_fma_f16 v55, v109, v29, v22
	v_and_b32_e32 v22, 0x40004, v47
	v_pk_fma_f16 v0, v100, v29, v0
	v_pk_fma_f16 v1, v101, v29, v1
	v_and_or_b32 v6, 0x10001, v35, v6
	ds_read2_b32 v[28:29], v2 offset0:14 offset1:15
	v_or3_b32 v6, v6, v22, 0x64006400
	v_and_or_b32 v22, v45, s25, 0x64006400
	v_pk_add_f16 v35, v53, v6
	v_and_b32_e32 v6, 0x20002, v40
	v_pk_fma_f16 v41, 0x2400, v22, v78 op_sel_hi:[0,1,1]
	v_and_b32_e32 v22, 0x40004, v46
	v_and_or_b32 v6, 0x10001, v36, v6
	v_or3_b32 v6, v6, v22, 0x64006400
	v_and_or_b32 v22, v43, s25, 0x64006400
	v_pk_add_f16 v36, v52, v6
	v_and_b32_e32 v6, 0x20002, v39
	v_pk_fma_f16 v40, 0x2400, v22, v77 op_sel_hi:[0,1,1]
	v_and_b32_e32 v22, 0x40004, v44
	v_and_or_b32 v6, 0x10001, v37, v6
	v_or3_b32 v6, v6, v22, 0x64006400
	v_and_or_b32 v22, v42, s25, 0x64006400
	v_pk_add_f16 v37, v51, v6
	v_and_b32_e32 v6, 0x20002, v38
	v_pk_fma_f16 v39, 0x2400, v22, v76 op_sel_hi:[0,1,1]
	s_waitcnt lgkmcnt(0)
	v_pk_fma_f16 v22, v40, v28, v85
	v_and_or_b32 v3, 0x10001, v3, v6
	v_and_b32_e32 v6, 0x40004, v49
	v_pk_fma_f16 v42, v39, v28, v86
	v_pk_fma_f16 v47, v36, v29, v22
	v_or3_b32 v3, v3, v6, 0x64006400
	v_and_or_b32 v6, v48, s25, 0x64006400
	v_pk_fma_f16 v42, v37, v29, v42
	v_pk_add_f16 v3, v50, v3
	v_pk_fma_f16 v38, 0x2400, v6, v75 op_sel_hi:[0,1,1]
	v_pk_fma_f16 v6, v41, v28, v84
	v_pk_fma_f16 v28, v38, v28, v87
	v_pk_fma_f16 v46, v35, v29, v6
	v_pk_fma_f16 v43, v3, v29, v28
	ds_read2_b32 v[28:29], v2 offset0:78 offset1:79
	s_waitcnt lgkmcnt(0)
	v_pk_fma_f16 v6, v41, v28, v80
	v_pk_fma_f16 v22, v40, v28, v81
	v_pk_fma_f16 v44, v39, v28, v82
	v_pk_fma_f16 v28, v38, v28, v83
	v_pk_fma_f16 v50, v35, v29, v6
	v_pk_fma_f16 v51, v36, v29, v22
	v_pk_fma_f16 v44, v37, v29, v44
	v_pk_fma_f16 v45, v3, v29, v28
	ds_read2_b32 v[28:29], v2 offset0:142 offset1:143
	s_waitcnt lgkmcnt(0)
	v_pk_fma_f16 v6, v41, v28, v72
	v_pk_fma_f16 v22, v40, v28, v73
	v_pk_fma_f16 v48, v39, v28, v74
	v_pk_fma_f16 v28, v38, v28, v79
	;; [unrolled: 10-line block ×3, first 2 shown]
	v_pk_fma_f16 v69, v36, v29, v6
	v_mov_b32_e32 v6, s3
	v_pk_fma_f16 v68, v35, v29, v2
	v_pk_fma_f16 v2, v37, v29, v22
	;; [unrolled: 1-line block ×3, first 2 shown]
	s_add_i32 s3, s22, 0x538
	ds_read2_b32 v[28:29], v6 offset1:1
	s_waitcnt lgkmcnt(0)
	v_pk_fma_f16 v6, v41, v28, v64
	v_pk_fma_f16 v22, v40, v28, v65
	;; [unrolled: 1-line block ×5, first 2 shown]
	v_mov_b32_e32 v6, s3
	v_pk_fma_f16 v67, v36, v29, v22
	v_pk_fma_f16 v64, v37, v29, v64
	;; [unrolled: 1-line block ×3, first 2 shown]
	s_add_i32 s3, s22, 0x638
	ds_read2_b32 v[28:29], v6 offset1:1
	s_waitcnt lgkmcnt(0)
	v_pk_fma_f16 v6, v41, v28, v60
	v_pk_fma_f16 v22, v40, v28, v61
	;; [unrolled: 1-line block ×5, first 2 shown]
	v_mov_b32_e32 v6, s3
	v_pk_fma_f16 v63, v36, v29, v22
	v_pk_fma_f16 v60, v37, v29, v60
	;; [unrolled: 1-line block ×3, first 2 shown]
	s_add_i32 s3, s22, 0x738
	ds_read2_b32 v[28:29], v6 offset1:1
	s_add_i32 s22, s22, 64
	s_cmp_ge_i32 s20, s21
	s_waitcnt lgkmcnt(0)
	v_pk_fma_f16 v6, v41, v28, v56
	v_pk_fma_f16 v22, v40, v28, v57
	v_pk_fma_f16 v56, v39, v28, v58
	v_pk_fma_f16 v28, v38, v28, v59
	v_pk_fma_f16 v58, v35, v29, v6
	v_mov_b32_e32 v6, s3
	v_pk_fma_f16 v59, v36, v29, v22
	v_pk_fma_f16 v56, v37, v29, v56
	;; [unrolled: 1-line block ×3, first 2 shown]
	v_add_co_u32 v7, s3, v7, s9
	ds_read2_b32 v[28:29], v6 offset1:1
	v_add_co_ci_u32_e64 v8, null, s8, v8, s3
	s_waitcnt lgkmcnt(0)
	v_pk_fma_f16 v22, v38, v28, v55
	v_pk_fma_f16 v0, v41, v28, v0
	;; [unrolled: 1-line block ×4, first 2 shown]
	v_perm_b32 v28, v47, v46, 0x7060302
	v_pk_fma_f16 v3, v3, v29, v22
	v_pack_b32_f16 v22, v46, v47
	v_pk_fma_f16 v0, v35, v29, v0
	v_pk_fma_f16 v1, v36, v29, v1
	;; [unrolled: 1-line block ×3, first 2 shown]
	v_pack_b32_f16 v29, v53, v72
	v_pk_add_f16 v22, v22, v28
	v_perm_b32 v28, v51, v50, 0x7060302
	v_perm_b32 v35, v72, v53, 0x7060302
	v_pack_b32_f16 v36, v68, v69
	v_perm_b32 v37, v69, v68, 0x7060302
	v_pk_fma_f16 v26, v22, v9, v26
	v_pack_b32_f16 v22, v50, v51
	v_pack_b32_f16 v38, v66, v67
	v_perm_b32 v39, v67, v66, 0x7060302
	v_pack_b32_f16 v40, v62, v63
	v_perm_b32 v41, v63, v62, 0x7060302
	v_pk_add_f16 v22, v22, v28
	v_pk_add_f16 v28, v29, v35
	;; [unrolled: 1-line block ×5, first 2 shown]
	v_pk_fma_f16 v24, v22, v9, v24
	v_pk_fma_f16 v21, v28, v9, v21
	;; [unrolled: 1-line block ×5, first 2 shown]
	v_pack_b32_f16 v22, v58, v59
	v_perm_b32 v28, v59, v58, 0x7060302
	v_pack_b32_f16 v29, v0, v1
	v_perm_b32 v0, v1, v0, 0x7060302
	;; [unrolled: 2-line block ×5, first 2 shown]
	v_pk_add_f16 v22, v22, v28
	v_pk_add_f16 v0, v29, v0
	;; [unrolled: 1-line block ×5, first 2 shown]
	v_pk_fma_f16 v13, v22, v9, v13
	v_pk_fma_f16 v11, v0, v9, v11
	;; [unrolled: 1-line block ×5, first 2 shown]
	v_pack_b32_f16 v0, v2, v52
	v_perm_b32 v1, v52, v2, 0x7060302
	v_pack_b32_f16 v2, v64, v65
	v_perm_b32 v22, v65, v64, 0x7060302
	;; [unrolled: 2-line block ×5, first 2 shown]
	v_pk_add_f16 v0, v0, v1
	v_pk_add_f16 v1, v2, v22
	;; [unrolled: 1-line block ×5, first 2 shown]
	v_pk_fma_f16 v18, v0, v10, v18
	v_pk_fma_f16 v16, v1, v10, v16
	;; [unrolled: 1-line block ×5, first 2 shown]
	s_cbranch_scc1 .LBB44_56
.LBB44_39:                              ; =>This Inner Loop Header: Depth=1
	s_cmp_lg_u32 s20, s23
	s_cbranch_scc1 .LBB44_38
; %bb.40:                               ;   in Loop: Header=BB44_39 Depth=1
	s_clause 0x1
	buffer_load_dword v0, off, s[36:39], 0
	buffer_load_dword v1, off, s[36:39], 0 offset:4
	s_add_i32 s18, s18, 1
                                        ; implicit-def: $vgpr2
	s_mul_i32 s26, s18, s16
	s_ashr_i32 s3, s26, 31
	s_lshr_b32 s3, s3, 27
	s_add_i32 s3, s26, s3
	s_ashr_i32 s3, s3, 5
	s_waitcnt vmcnt(0)
	v_mad_u64_u32 v[0:1], null, s3, 3, v[0:1]
	v_ashrrev_i32_e32 v1, 31, v0
	v_lshlrev_b64 v[0:1], 2, v[0:1]
	v_add_co_u32 v0, s3, s10, v0
	v_add_co_ci_u32_e64 v1, null, s11, v1, s3
	global_load_dword v3, v[0:1], off
	s_and_saveexec_b32 s3, vcc_lo
	s_xor_b32 s3, exec_lo, s3
	s_cbranch_execz .LBB44_54
; %bb.41:                               ;   in Loop: Header=BB44_39 Depth=1
                                        ; implicit-def: $vgpr2
	s_and_saveexec_b32 s27, s0
	s_xor_b32 s27, exec_lo, s27
	s_cbranch_execz .LBB44_51
; %bb.42:                               ;   in Loop: Header=BB44_39 Depth=1
                                        ; implicit-def: $vgpr2
	s_and_saveexec_b32 s28, s1
	;; [unrolled: 5-line block ×3, first 2 shown]
	s_xor_b32 s29, exec_lo, s29
	s_cbranch_execz .LBB44_45
; %bb.44:                               ;   in Loop: Header=BB44_39 Depth=1
	buffer_load_dword v0, off, s[36:39], 0 offset:16 ; 4-byte Folded Reload
	s_waitcnt vmcnt(0)
	v_lshrrev_b32_e32 v2, v0, v3
                                        ; implicit-def: $vgpr0_vgpr1
                                        ; implicit-def: $vgpr3
.LBB44_45:                              ;   in Loop: Header=BB44_39 Depth=1
	s_andn2_saveexec_b32 s29, s29
	s_cbranch_execz .LBB44_47
; %bb.46:                               ;   in Loop: Header=BB44_39 Depth=1
	global_load_dword v0, v[0:1], off offset:4
	s_waitcnt vmcnt(0)
	v_alignbit_b32 v0, v0, v3, 28
	v_and_b32_e32 v2, 0xfff, v0
.LBB44_47:                              ;   in Loop: Header=BB44_39 Depth=1
	s_or_b32 exec_lo, exec_lo, s29
                                        ; implicit-def: $vgpr3
.LBB44_48:                              ;   in Loop: Header=BB44_39 Depth=1
	s_andn2_saveexec_b32 s28, s28
	s_cbranch_execz .LBB44_50
; %bb.49:                               ;   in Loop: Header=BB44_39 Depth=1
	buffer_load_dword v0, off, s[36:39], 0 offset:12 ; 4-byte Folded Reload
	s_waitcnt vmcnt(0)
	v_lshrrev_b32_e32 v2, v0, v3
.LBB44_50:                              ;   in Loop: Header=BB44_39 Depth=1
	s_or_b32 exec_lo, exec_lo, s28
                                        ; implicit-def: $vgpr0_vgpr1
                                        ; implicit-def: $vgpr3
.LBB44_51:                              ;   in Loop: Header=BB44_39 Depth=1
	s_andn2_saveexec_b32 s27, s27
	s_cbranch_execz .LBB44_53
; %bb.52:                               ;   in Loop: Header=BB44_39 Depth=1
	global_load_dword v0, v[0:1], off offset:4
	s_waitcnt vmcnt(0)
	v_perm_b32 v0, v3, v0, 0x2010007
	v_and_b32_e32 v2, 0xfff, v0
.LBB44_53:                              ;   in Loop: Header=BB44_39 Depth=1
	s_or_b32 exec_lo, exec_lo, s27
                                        ; implicit-def: $vgpr3
.LBB44_54:                              ;   in Loop: Header=BB44_39 Depth=1
	s_andn2_saveexec_b32 s3, s3
	s_cbranch_execz .LBB44_37
; %bb.55:                               ;   in Loop: Header=BB44_39 Depth=1
	buffer_load_dword v0, off, s[36:39], 0 offset:8 ; 4-byte Folded Reload
	s_waitcnt vmcnt(0)
	v_lshrrev_b32_e32 v2, v0, v3
	s_branch .LBB44_37
.LBB44_56:
	v_mad_u64_u32 v[0:1], null, s7, s16, v[4:5]
	s_mov_b32 s0, 0
	v_ashrrev_i32_e32 v1, 31, v0
	v_lshlrev_b64 v[1:2], 1, v[0:1]
	v_add_co_u32 v1, vcc_lo, s14, v1
	v_add_co_ci_u32_e64 v2, null, s15, v2, vcc_lo
	global_load_dword v4, v[1:2], off
.LBB44_57:                              ; =>This Inner Loop Header: Depth=1
	s_waitcnt vmcnt(0)
	v_pk_add_f16 v3, v26, v4
	global_atomic_cmpswap v3, v[1:2], v[3:4], off glc
	s_waitcnt vmcnt(0)
	v_cmp_eq_u32_e32 vcc_lo, v4, v3
	v_mov_b32_e32 v4, v3
	s_or_b32 s0, vcc_lo, s0
	s_andn2_b32 exec_lo, exec_lo, s0
	s_cbranch_execnz .LBB44_57
; %bb.58:
	s_or_b32 exec_lo, exec_lo, s0
	global_load_dword v4, v[1:2], off offset:4
	s_mov_b32 s0, 0
.LBB44_59:                              ; =>This Inner Loop Header: Depth=1
	s_waitcnt vmcnt(0)
	v_pk_add_f16 v3, v25, v4
	global_atomic_cmpswap v3, v[1:2], v[3:4], off offset:4 glc
	s_waitcnt vmcnt(0)
	v_cmp_eq_u32_e32 vcc_lo, v4, v3
	v_mov_b32_e32 v4, v3
	s_or_b32 s0, vcc_lo, s0
	s_andn2_b32 exec_lo, exec_lo, s0
	s_cbranch_execnz .LBB44_59
; %bb.60:
	s_or_b32 exec_lo, exec_lo, s0
	v_add_nc_u32_e32 v0, s16, v0
	s_mov_b32 s0, 0
	v_ashrrev_i32_e32 v1, 31, v0
	v_lshlrev_b64 v[1:2], 1, v[0:1]
	v_add_co_u32 v1, vcc_lo, s14, v1
	v_add_co_ci_u32_e64 v2, null, s15, v2, vcc_lo
	global_load_dword v4, v[1:2], off
.LBB44_61:                              ; =>This Inner Loop Header: Depth=1
	s_waitcnt vmcnt(0)
	v_pk_add_f16 v3, v24, v4
	global_atomic_cmpswap v3, v[1:2], v[3:4], off glc
	s_waitcnt vmcnt(0)
	v_cmp_eq_u32_e32 vcc_lo, v4, v3
	v_mov_b32_e32 v4, v3
	s_or_b32 s0, vcc_lo, s0
	s_andn2_b32 exec_lo, exec_lo, s0
	s_cbranch_execnz .LBB44_61
; %bb.62:
	s_or_b32 exec_lo, exec_lo, s0
	global_load_dword v4, v[1:2], off offset:4
	s_mov_b32 s0, 0
.LBB44_63:                              ; =>This Inner Loop Header: Depth=1
	s_waitcnt vmcnt(0)
	v_pk_add_f16 v3, v23, v4
	global_atomic_cmpswap v3, v[1:2], v[3:4], off offset:4 glc
	s_waitcnt vmcnt(0)
	v_cmp_eq_u32_e32 vcc_lo, v4, v3
	v_mov_b32_e32 v4, v3
	s_or_b32 s0, vcc_lo, s0
	s_andn2_b32 exec_lo, exec_lo, s0
	s_cbranch_execnz .LBB44_63
; %bb.64:
	s_or_b32 exec_lo, exec_lo, s0
	v_add_nc_u32_e32 v0, s16, v0
	;; [unrolled: 33-line block ×7, first 2 shown]
	s_mov_b32 s0, 0
	v_ashrrev_i32_e32 v1, 31, v0
	v_lshlrev_b64 v[0:1], 1, v[0:1]
	v_add_co_u32 v0, vcc_lo, s14, v0
	v_add_co_ci_u32_e64 v1, null, s15, v1, vcc_lo
	global_load_dword v3, v[0:1], off
.LBB44_85:                              ; =>This Inner Loop Header: Depth=1
	s_waitcnt vmcnt(0)
	v_pk_add_f16 v2, v11, v3
	global_atomic_cmpswap v2, v[0:1], v[2:3], off glc
	s_waitcnt vmcnt(0)
	v_cmp_eq_u32_e32 vcc_lo, v3, v2
	v_mov_b32_e32 v3, v2
	s_or_b32 s0, vcc_lo, s0
	s_andn2_b32 exec_lo, exec_lo, s0
	s_cbranch_execnz .LBB44_85
; %bb.86:
	s_or_b32 exec_lo, exec_lo, s0
	global_load_dword v3, v[0:1], off offset:4
	s_mov_b32 s0, 0
.LBB44_87:                              ; =>This Inner Loop Header: Depth=1
	s_waitcnt vmcnt(0)
	v_pk_add_f16 v2, v5, v3
	global_atomic_cmpswap v2, v[0:1], v[2:3], off offset:4 glc
	s_waitcnt vmcnt(0)
	v_cmp_eq_u32_e32 vcc_lo, v3, v2
	v_mov_b32_e32 v3, v2
	s_or_b32 s0, vcc_lo, s0
	s_andn2_b32 exec_lo, exec_lo, s0
	s_cbranch_execnz .LBB44_87
.LBB44_88:
	s_endpgm
	.section	.rodata,"a",@progbits
	.p2align	6, 0x0
	.amdhsa_kernel _ZN4vllm4gptq33gemm_half_q_half_gptq_3bit_kernelILb1ELi8EEEvPK6__halfPKjS6_S4_PS2_iiiibPKi
		.amdhsa_group_segment_fixed_size 2048
		.amdhsa_private_segment_fixed_size 24
		.amdhsa_kernarg_size 72
		.amdhsa_user_sgpr_count 6
		.amdhsa_user_sgpr_private_segment_buffer 1
		.amdhsa_user_sgpr_dispatch_ptr 0
		.amdhsa_user_sgpr_queue_ptr 0
		.amdhsa_user_sgpr_kernarg_segment_ptr 1
		.amdhsa_user_sgpr_dispatch_id 0
		.amdhsa_user_sgpr_flat_scratch_init 0
		.amdhsa_user_sgpr_private_segment_size 0
		.amdhsa_wavefront_size32 1
		.amdhsa_uses_dynamic_stack 0
		.amdhsa_system_sgpr_private_segment_wavefront_offset 1
		.amdhsa_system_sgpr_workgroup_id_x 1
		.amdhsa_system_sgpr_workgroup_id_y 1
		.amdhsa_system_sgpr_workgroup_id_z 1
		.amdhsa_system_sgpr_workgroup_info 0
		.amdhsa_system_vgpr_workitem_id 0
		.amdhsa_next_free_vgpr 128
		.amdhsa_next_free_sgpr 40
		.amdhsa_reserve_vcc 1
		.amdhsa_reserve_flat_scratch 0
		.amdhsa_float_round_mode_32 0
		.amdhsa_float_round_mode_16_64 0
		.amdhsa_float_denorm_mode_32 3
		.amdhsa_float_denorm_mode_16_64 3
		.amdhsa_dx10_clamp 1
		.amdhsa_ieee_mode 1
		.amdhsa_fp16_overflow 0
		.amdhsa_workgroup_processor_mode 1
		.amdhsa_memory_ordered 1
		.amdhsa_forward_progress 1
		.amdhsa_shared_vgpr_count 0
		.amdhsa_exception_fp_ieee_invalid_op 0
		.amdhsa_exception_fp_denorm_src 0
		.amdhsa_exception_fp_ieee_div_zero 0
		.amdhsa_exception_fp_ieee_overflow 0
		.amdhsa_exception_fp_ieee_underflow 0
		.amdhsa_exception_fp_ieee_inexact 0
		.amdhsa_exception_int_div_zero 0
	.end_amdhsa_kernel
	.section	.text._ZN4vllm4gptq33gemm_half_q_half_gptq_3bit_kernelILb1ELi8EEEvPK6__halfPKjS6_S4_PS2_iiiibPKi,"axG",@progbits,_ZN4vllm4gptq33gemm_half_q_half_gptq_3bit_kernelILb1ELi8EEEvPK6__halfPKjS6_S4_PS2_iiiibPKi,comdat
.Lfunc_end44:
	.size	_ZN4vllm4gptq33gemm_half_q_half_gptq_3bit_kernelILb1ELi8EEEvPK6__halfPKjS6_S4_PS2_iiiibPKi, .Lfunc_end44-_ZN4vllm4gptq33gemm_half_q_half_gptq_3bit_kernelILb1ELi8EEEvPK6__halfPKjS6_S4_PS2_iiiibPKi
                                        ; -- End function
	.set _ZN4vllm4gptq33gemm_half_q_half_gptq_3bit_kernelILb1ELi8EEEvPK6__halfPKjS6_S4_PS2_iiiibPKi.num_vgpr, 128
	.set _ZN4vllm4gptq33gemm_half_q_half_gptq_3bit_kernelILb1ELi8EEEvPK6__halfPKjS6_S4_PS2_iiiibPKi.num_agpr, 0
	.set _ZN4vllm4gptq33gemm_half_q_half_gptq_3bit_kernelILb1ELi8EEEvPK6__halfPKjS6_S4_PS2_iiiibPKi.numbered_sgpr, 40
	.set _ZN4vllm4gptq33gemm_half_q_half_gptq_3bit_kernelILb1ELi8EEEvPK6__halfPKjS6_S4_PS2_iiiibPKi.num_named_barrier, 0
	.set _ZN4vllm4gptq33gemm_half_q_half_gptq_3bit_kernelILb1ELi8EEEvPK6__halfPKjS6_S4_PS2_iiiibPKi.private_seg_size, 24
	.set _ZN4vllm4gptq33gemm_half_q_half_gptq_3bit_kernelILb1ELi8EEEvPK6__halfPKjS6_S4_PS2_iiiibPKi.uses_vcc, 1
	.set _ZN4vllm4gptq33gemm_half_q_half_gptq_3bit_kernelILb1ELi8EEEvPK6__halfPKjS6_S4_PS2_iiiibPKi.uses_flat_scratch, 0
	.set _ZN4vllm4gptq33gemm_half_q_half_gptq_3bit_kernelILb1ELi8EEEvPK6__halfPKjS6_S4_PS2_iiiibPKi.has_dyn_sized_stack, 0
	.set _ZN4vllm4gptq33gemm_half_q_half_gptq_3bit_kernelILb1ELi8EEEvPK6__halfPKjS6_S4_PS2_iiiibPKi.has_recursion, 0
	.set _ZN4vllm4gptq33gemm_half_q_half_gptq_3bit_kernelILb1ELi8EEEvPK6__halfPKjS6_S4_PS2_iiiibPKi.has_indirect_call, 0
	.section	.AMDGPU.csdata,"",@progbits
; Kernel info:
; codeLenInByte = 11600
; TotalNumSgprs: 42
; NumVgprs: 128
; ScratchSize: 24
; MemoryBound: 0
; FloatMode: 240
; IeeeMode: 1
; LDSByteSize: 2048 bytes/workgroup (compile time only)
; SGPRBlocks: 0
; VGPRBlocks: 15
; NumSGPRsForWavesPerEU: 42
; NumVGPRsForWavesPerEU: 128
; Occupancy: 8
; WaveLimiterHint : 0
; COMPUTE_PGM_RSRC2:SCRATCH_EN: 1
; COMPUTE_PGM_RSRC2:USER_SGPR: 6
; COMPUTE_PGM_RSRC2:TRAP_HANDLER: 0
; COMPUTE_PGM_RSRC2:TGID_X_EN: 1
; COMPUTE_PGM_RSRC2:TGID_Y_EN: 1
; COMPUTE_PGM_RSRC2:TGID_Z_EN: 1
; COMPUTE_PGM_RSRC2:TIDIG_COMP_CNT: 0
	.section	.text._ZN4vllm4gptq33gemm_half_q_half_gptq_4bit_kernelILb1ELi8EEEvPK6__halfPKjS6_S4_PS2_iiiibPKi,"axG",@progbits,_ZN4vllm4gptq33gemm_half_q_half_gptq_4bit_kernelILb1ELi8EEEvPK6__halfPKjS6_S4_PS2_iiiibPKi,comdat
	.protected	_ZN4vllm4gptq33gemm_half_q_half_gptq_4bit_kernelILb1ELi8EEEvPK6__halfPKjS6_S4_PS2_iiiibPKi ; -- Begin function _ZN4vllm4gptq33gemm_half_q_half_gptq_4bit_kernelILb1ELi8EEEvPK6__halfPKjS6_S4_PS2_iiiibPKi
	.globl	_ZN4vllm4gptq33gemm_half_q_half_gptq_4bit_kernelILb1ELi8EEEvPK6__halfPKjS6_S4_PS2_iiiibPKi
	.p2align	8
	.type	_ZN4vllm4gptq33gemm_half_q_half_gptq_4bit_kernelILb1ELi8EEEvPK6__halfPKjS6_S4_PS2_iiiibPKi,@function
_ZN4vllm4gptq33gemm_half_q_half_gptq_4bit_kernelILb1ELi8EEEvPK6__halfPKjS6_S4_PS2_iiiibPKi: ; @_ZN4vllm4gptq33gemm_half_q_half_gptq_4bit_kernelILb1ELi8EEEvPK6__halfPKjS6_S4_PS2_iiiibPKi
; %bb.0:
	s_load_dwordx4 s[0:3], s[4:5], 0x2c
	s_lshl_b32 s18, s8, 7
	s_lshl_b32 s7, s7, 3
	s_add_i32 s8, s18, 0x80
	s_mov_b32 s20, exec_lo
	v_cvt_f64_u32_e32 v[1:2], s8
	s_load_dwordx8 s[8:15], s[4:5], 0x8
	s_waitcnt lgkmcnt(0)
	v_cvt_f64_i32_e32 v[3:4], s1
	v_min_f64 v[1:2], v[1:2], v[3:4]
	v_cvt_i32_f64_e32 v2, v[1:2]
	v_add_nc_u32_e32 v1, s18, v0
	v_readfirstlane_b32 s19, v2
	v_cmpx_lt_u32_e64 v1, v2
	s_cbranch_execz .LBB45_18
; %bb.1:
	s_clause 0x1
	s_load_dwordx2 s[16:17], s[4:5], 0x40
	s_load_dwordx2 s[4:5], s[4:5], 0x0
	v_mov_b32_e32 v2, 0
	v_lshlrev_b64 v[3:4], 2, v[1:2]
	v_mov_b32_e32 v6, v2
	v_mov_b32_e32 v5, v1
	s_waitcnt lgkmcnt(0)
	v_add_co_u32 v3, vcc_lo, s16, v3
	v_add_co_ci_u32_e64 v4, null, s17, v4, vcc_lo
	s_cmp_lg_u64 s[16:17], 0
	s_cselect_b32 s21, -1, 0
	s_cmp_eq_u64 s[16:17], 0
	s_cbranch_scc1 .LBB45_3
; %bb.2:
	global_load_dword v5, v[3:4], off
	s_waitcnt vmcnt(0)
	v_ashrrev_i32_e32 v6, 31, v5
.LBB45_3:
	s_mul_i32 s16, s7, s1
	v_lshlrev_b64 v[5:6], 1, v[5:6]
	s_ashr_i32 s17, s16, 31
	v_cndmask_b32_e64 v8, 0, 1, s21
	s_lshl_b64 s[22:23], s[16:17], 1
	v_lshlrev_b32_e32 v7, 1, v0
	s_add_u32 s17, s4, s22
	s_addc_u32 s22, s5, s23
	v_add_co_u32 v5, vcc_lo, s17, v5
	v_add_co_ci_u32_e64 v6, null, s22, v6, vcc_lo
	s_andn2_b32 vcc_lo, exec_lo, s21
	global_load_ushort v9, v[5:6], off
	v_mov_b32_e32 v6, v2
	v_mov_b32_e32 v5, v1
	s_waitcnt vmcnt(0)
	ds_write_b16 v7, v9
	s_cbranch_vccnz .LBB45_5
; %bb.4:
	global_load_dword v5, v[3:4], off
	s_waitcnt vmcnt(0)
	v_ashrrev_i32_e32 v6, 31, v5
.LBB45_5:
	s_add_i32 s16, s16, s1
	v_lshlrev_b64 v[5:6], 1, v[5:6]
	s_ashr_i32 s17, s16, 31
	s_lshl_b64 s[22:23], s[16:17], 1
	s_add_u32 s17, s4, s22
	s_addc_u32 s21, s5, s23
	v_add_co_u32 v5, vcc_lo, s17, v5
	v_add_co_ci_u32_e64 v6, null, s21, v6, vcc_lo
	v_cmp_ne_u32_e32 vcc_lo, 1, v8
	global_load_ushort v9, v[5:6], off
	v_mov_b32_e32 v6, v2
	v_mov_b32_e32 v5, v1
	s_waitcnt vmcnt(0)
	ds_write_b16 v7, v9 offset:256
	s_cbranch_vccnz .LBB45_7
; %bb.6:
	global_load_dword v5, v[3:4], off
	s_waitcnt vmcnt(0)
	v_ashrrev_i32_e32 v6, 31, v5
.LBB45_7:
	s_add_i32 s16, s16, s1
	v_lshlrev_b64 v[5:6], 1, v[5:6]
	s_ashr_i32 s17, s16, 31
	s_lshl_b64 s[22:23], s[16:17], 1
	s_add_u32 s17, s4, s22
	s_addc_u32 s21, s5, s23
	v_add_co_u32 v5, vcc_lo, s17, v5
	v_add_co_ci_u32_e64 v6, null, s21, v6, vcc_lo
	v_cmp_ne_u32_e32 vcc_lo, 1, v8
	global_load_ushort v9, v[5:6], off
	v_mov_b32_e32 v6, v2
	v_mov_b32_e32 v5, v1
	s_waitcnt vmcnt(0)
	ds_write_b16 v7, v9 offset:512
	;; [unrolled: 20-line block ×5, first 2 shown]
	s_cbranch_vccnz .LBB45_15
; %bb.14:
	global_load_dword v5, v[3:4], off
	s_waitcnt vmcnt(0)
	v_ashrrev_i32_e32 v6, 31, v5
.LBB45_15:
	s_add_i32 s16, s16, s1
	v_lshlrev_b64 v[5:6], 1, v[5:6]
	s_ashr_i32 s17, s16, 31
	s_lshl_b64 s[22:23], s[16:17], 1
	s_add_u32 s17, s4, s22
	s_addc_u32 s21, s5, s23
	v_add_co_u32 v5, vcc_lo, s17, v5
	v_add_co_ci_u32_e64 v6, null, s21, v6, vcc_lo
	v_cmp_ne_u32_e32 vcc_lo, 1, v8
	global_load_ushort v5, v[5:6], off
	s_waitcnt vmcnt(0)
	ds_write_b16 v7, v5 offset:1536
	s_cbranch_vccnz .LBB45_17
; %bb.16:
	global_load_dword v1, v[3:4], off
	s_waitcnt vmcnt(0)
	v_ashrrev_i32_e32 v2, 31, v1
.LBB45_17:
	s_add_i32 s16, s16, s1
	v_lshlrev_b64 v[1:2], 1, v[1:2]
	s_ashr_i32 s17, s16, 31
	s_lshl_b64 s[16:17], s[16:17], 1
	s_add_u32 s4, s4, s16
	s_addc_u32 s5, s5, s17
	v_add_co_u32 v1, vcc_lo, s4, v1
	v_add_co_ci_u32_e64 v2, null, s5, v2, vcc_lo
	global_load_ushort v1, v[1:2], off
	s_waitcnt vmcnt(0)
	ds_write_b16 v7, v1 offset:1792
.LBB45_18:
	s_or_b32 exec_lo, exec_lo, s20
	v_lshlrev_b32_e32 v1, 2, v0
	s_mov_b32 s4, exec_lo
	v_lshl_add_u32 v1, s6, 9, v1
	v_cmpx_gt_i32_e64 s0, v1
	s_cbranch_execz .LBB45_56
; %bb.19:
	s_abs_i32 s4, s2
	v_mov_b32_e32 v13, 0
	v_cvt_f32_u32_e32 v2, s4
	v_mov_b32_e32 v10, 0
	v_mov_b32_e32 v11, 0
	;; [unrolled: 1-line block ×4, first 2 shown]
	v_rcp_iflag_f32_e32 v2, v2
	v_mov_b32_e32 v15, 0
	v_mov_b32_e32 v16, 0
	v_mov_b32_e32 v17, 0
	v_mov_b32_e32 v18, 0
	v_mov_b32_e32 v19, 0
	v_mov_b32_e32 v20, 0
	v_mov_b32_e32 v21, 0
	v_mov_b32_e32 v22, 0
	v_mov_b32_e32 v23, 0
	v_mul_f32_e32 v2, 0x4f7ffffe, v2
	v_mov_b32_e32 v24, 0
	v_mov_b32_e32 v25, 0
	;; [unrolled: 1-line block ×4, first 2 shown]
	v_cvt_u32_f32_e32 v2, v2
	v_mov_b32_e32 v28, 0
	v_mov_b32_e32 v29, 0
	v_mov_b32_e32 v30, 0
	v_mov_b32_e32 v31, 0
	v_readfirstlane_b32 s5, v2
	v_mov_b32_e32 v32, 0
	v_mov_b32_e32 v33, 0
	;; [unrolled: 1-line block ×10, first 2 shown]
	s_cmp_ge_i32 s18, s19
	s_waitcnt lgkmcnt(0)
	s_barrier
	buffer_gl0_inv
	s_cbranch_scc1 .LBB45_24
; %bb.20:
	s_sub_i32 s6, 0, s4
	s_abs_i32 s16, s1
	s_mul_i32 s6, s6, s5
	s_ashr_i32 s1, s1, 31
	s_mul_hi_u32 s6, s5, s6
	s_ashr_i32 s2, s2, 31
	s_add_i32 s5, s5, s6
	s_xor_b32 s1, s1, s2
	s_mul_hi_u32 s5, s16, s5
	s_mov_b32 s20, 0xe400e400
	s_mul_i32 s6, s5, s4
	v_mov_b32_e32 v40, 0
	s_sub_i32 s2, s16, s6
	s_add_i32 s6, s5, 1
	s_sub_i32 s16, s2, s4
	s_cmp_ge_u32 s2, s4
	v_mov_b32_e32 v42, 0
	s_cselect_b32 s5, s6, s5
	s_cselect_b32 s2, s16, s2
	s_add_i32 s6, s5, 1
	s_cmp_ge_u32 s2, s4
	v_mov_b32_e32 v39, 0
	s_cselect_b32 s2, s6, s5
	v_mov_b32_e32 v38, 0
	s_xor_b32 s2, s2, s1
	v_mov_b32_e32 v37, 0
	s_sub_i32 s6, s2, s1
	s_bitcmp1_b32 s3, 0
	v_cvt_f32_u32_e32 v2, s6
	s_cselect_b32 s2, -1, 0
	s_sub_i32 s3, 0, s6
	s_xor_b32 s4, s2, -1
	v_mov_b32_e32 v36, 0
	v_rcp_iflag_f32_e32 v2, v2
	v_cndmask_b32_e64 v44, 0, 1, s4
	v_mov_b32_e32 v35, 0
	v_mov_b32_e32 v34, 0
	;; [unrolled: 1-line block ×8, first 2 shown]
	v_mul_f32_e32 v2, 0x4f7ffffe, v2
	v_mov_b32_e32 v27, 0
	v_mov_b32_e32 v26, 0
	;; [unrolled: 1-line block ×4, first 2 shown]
	v_cvt_u32_f32_e32 v2, v2
	v_mov_b32_e32 v23, 0
	v_mov_b32_e32 v22, 0
	v_mov_b32_e32 v21, 0
	v_mov_b32_e32 v20, 0
	v_readfirstlane_b32 s1, v2
	v_ashrrev_i32_e32 v2, 31, v1
	v_mov_b32_e32 v19, 0
	v_mov_b32_e32 v18, 0
	;; [unrolled: 1-line block ×3, first 2 shown]
	s_mul_i32 s3, s3, s1
	v_lshrrev_b32_e32 v3, 29, v2
	s_mul_hi_u32 s3, s1, s3
	v_mov_b32_e32 v16, 0
	s_add_i32 s1, s1, s3
	v_mov_b32_e32 v15, 0
	s_mul_hi_u32 s1, s18, s1
	v_add_nc_u32_e32 v3, v1, v3
	s_mul_i32 s3, s1, s6
	v_mov_b32_e32 v14, 0
	s_sub_i32 s2, s18, s3
	s_add_i32 s3, s1, 1
	s_sub_i32 s5, s2, s6
	s_cmp_ge_u32 s2, s6
	v_ashrrev_i32_e32 v41, 3, v3
	s_cselect_b32 s1, s3, s1
	s_cselect_b32 s2, s5, s2
	s_add_i32 s3, s1, 1
	s_cmp_ge_u32 s2, s6
	v_mov_b32_e32 v12, 0
	s_cselect_b32 s16, s3, s1
	v_mov_b32_e32 v11, 0
	s_mul_i32 s1, s16, s0
	v_mov_b32_e32 v10, 0
	s_ashr_i32 s2, s1, 31
	v_add_nc_u32_e32 v5, s1, v1
	s_lshr_b32 s2, s2, 29
	s_mov_b32 s17, 0
	s_add_i32 s2, s1, s2
	s_lshr_b32 s1, s18, 3
	s_ashr_i32 s2, s2, 3
	v_ashrrev_i32_e32 v6, 31, v5
	v_add_nc_u32_e32 v3, s2, v41
	s_mul_i32 s2, s0, s1
	s_ashr_i32 s3, s2, 31
	v_lshlrev_b64 v[5:6], 1, v[5:6]
	v_ashrrev_i32_e32 v4, 31, v3
	s_lshl_b64 s[2:3], s[2:3], 2
	s_add_u32 s2, s8, s2
	s_addc_u32 s3, s9, s3
	v_lshlrev_b64 v[3:4], 2, v[3:4]
	s_ashr_i32 s1, s0, 31
	s_add_i32 s8, s6, s18
	s_lshl_b64 s[4:5], s[0:1], 2
	s_mov_b32 s9, 0xf000f0
	v_add_co_u32 v3, vcc_lo, s10, v3
	v_add_co_ci_u32_e64 v4, null, s11, v4, vcc_lo
	v_add_co_u32 v5, vcc_lo, s12, v5
	v_add_co_ci_u32_e64 v6, null, s13, v6, vcc_lo
	global_load_dword v7, v[3:4], off
	global_load_dwordx2 v[4:5], v[5:6], off
	v_lshlrev_b32_e32 v6, 4, v0
	v_lshlrev_b64 v[2:3], 2, v[1:2]
	v_mov_b32_e32 v0, 0x10001
	v_and_b32_e32 v43, 16, v6
	v_add_co_u32 v2, vcc_lo, s2, v2
	v_add_co_ci_u32_e64 v3, null, s3, v3, vcc_lo
	s_lshl_b64 s[2:3], s[0:1], 4
	s_mov_b32 s1, 0xf000f
	s_waitcnt vmcnt(1)
	v_lshrrev_b32_e32 v6, v6, v7
	s_waitcnt vmcnt(0)
	v_cvt_f32_f16_sdwa v48, v5 dst_sel:DWORD dst_unused:UNUSED_PAD src0_sel:WORD_1
	v_cvt_f32_f16_e32 v45, v5
	v_bfe_u32 v5, v7, v43, 4
	v_cvt_f32_f16_sdwa v46, v4 dst_sel:DWORD dst_unused:UNUSED_PAD src0_sel:WORD_1
	v_bfe_u32 v7, v6, 12, 4
	v_bfe_u32 v8, v6, 8, 4
	;; [unrolled: 1-line block ×3, first 2 shown]
	v_add_nc_u32_e32 v5, v5, v44
	v_cvt_f32_f16_e32 v47, v4
	v_add_nc_u32_e32 v4, v7, v44
	v_add_nc_u32_e32 v7, v8, v44
	;; [unrolled: 1-line block ×3, first 2 shown]
	v_cvt_f32_ubyte0_e32 v8, v5
	v_mad_u32_u24 v49, 0x10001, v5, s20
	v_cvt_f32_ubyte0_e32 v5, v4
	v_cvt_f32_ubyte0_e32 v9, v7
	;; [unrolled: 1-line block ×3, first 2 shown]
	v_mad_u32_u24 v50, 0x10001, v4, s20
	v_cvt_f16_f32_e32 v4, v8
	v_cvt_f16_f32_e32 v5, v5
	;; [unrolled: 1-line block ×4, first 2 shown]
	v_mad_u32_u24 v51, 0x10001, v7, s20
	v_sub_f16_e32 v4, 0xd400, v4
	v_sub_f16_e32 v5, 0xd400, v5
	;; [unrolled: 1-line block ×4, first 2 shown]
	v_mad_u32_u24 v52, 0x10001, v6, s20
	v_mul_u32_u24_sdwa v53, v4, v0 dst_sel:DWORD dst_unused:UNUSED_PAD src0_sel:WORD_0 src1_sel:DWORD
	v_mul_u32_u24_sdwa v54, v5, v0 dst_sel:DWORD dst_unused:UNUSED_PAD src0_sel:WORD_0 src1_sel:DWORD
	v_mul_u32_u24_sdwa v55, v7, v0 dst_sel:DWORD dst_unused:UNUSED_PAD src0_sel:WORD_0 src1_sel:DWORD
	v_mul_u32_u24_sdwa v56, v8, v0 dst_sel:DWORD dst_unused:UNUSED_PAD src0_sel:WORD_0 src1_sel:DWORD
	v_mov_b32_e32 v13, 0
	s_branch .LBB45_22
.LBB45_21:                              ;   in Loop: Header=BB45_22 Depth=1
	global_load_dwordx4 v[61:64], v[2:3], off
	s_add_i32 s21, s17, 0x400
	s_add_i32 s18, s18, 32
	s_waitcnt vmcnt(0)
	v_lshrrev_b32_e32 v57, 8, v62
	v_lshrrev_b32_e32 v6, 8, v61
	v_and_or_b32 v4, v61, s1, 0x64006400
	v_and_or_b32 v5, v61, s9, 0x64006400
	v_lshrrev_b32_e32 v60, 8, v63
	v_and_or_b32 v58, v57, s1, 0x64006400
	v_and_or_b32 v57, v57, s9, 0x64006400
	;; [unrolled: 1-line block ×4, first 2 shown]
	v_pk_add_f16 v7, v49, v4
	v_pk_fma_f16 v6, 0x2c00, v5, v53 op_sel_hi:[0,1,1]
	v_pk_fma_f16 v59, 0x2c00, v57, v56 op_sel_hi:[0,1,1]
	v_and_or_b32 v57, v63, s1, 0x64006400
	v_pk_add_f16 v4, v49, v8
	v_pk_fma_f16 v5, 0x2c00, v9, v53 op_sel_hi:[0,1,1]
	v_and_or_b32 v8, v62, s1, 0x64006400
	v_and_or_b32 v9, v62, s9, 0x64006400
	;; [unrolled: 1-line block ×5, first 2 shown]
	v_pk_add_f16 v60, v51, v57
	v_and_or_b32 v57, v64, s1, 0x64006400
	v_and_or_b32 v65, v64, s9, 0x64006400
	v_lshrrev_b32_e32 v64, 8, v64
	v_pk_add_f16 v8, v52, v8
	v_pk_fma_f16 v9, 0x2c00, v9, v56 op_sel_hi:[0,1,1]
	v_pk_add_f16 v58, v52, v58
	v_pk_fma_f16 v65, 0x2c00, v65, v54 op_sel_hi:[0,1,1]
	v_and_or_b32 v66, v64, s1, 0x64006400
	v_and_or_b32 v67, v64, s9, 0x64006400
	v_pk_add_f16 v64, v50, v57
	v_mov_b32_e32 v57, s17
	v_pk_fma_f16 v61, 0x2c00, v61, v55 op_sel_hi:[0,1,1]
	v_pk_add_f16 v66, v50, v66
	v_pk_fma_f16 v67, 0x2c00, v67, v54 op_sel_hi:[0,1,1]
	v_pk_add_f16 v62, v51, v62
	ds_read2_b32 v[68:69], v57 offset1:1
	v_pk_fma_f16 v63, 0x2c00, v63, v55 op_sel_hi:[0,1,1]
	s_waitcnt lgkmcnt(0)
	v_pk_fma_f16 v70, v7, v68, 0
	v_pk_fma_f16 v72, v6, v69, v70
	ds_read2_b32 v[70:71], v57 offset0:2 offset1:3
	s_waitcnt lgkmcnt(0)
	v_pk_fma_f16 v72, v4, v70, v72
	v_pk_fma_f16 v72, v5, v71, v72
	v_cvt_f32_f16_e32 v73, v72
	v_cvt_f32_f16_sdwa v72, v72 dst_sel:DWORD dst_unused:UNUSED_PAD src0_sel:WORD_1
	v_add_f32_e32 v72, v73, v72
	v_fmac_f32_e32 v40, v72, v47
	v_pk_fma_f16 v72, v8, v68, 0
	v_pk_fma_f16 v72, v9, v69, v72
	v_pk_fma_f16 v72, v58, v70, v72
	v_pk_fma_f16 v72, v59, v71, v72
	v_cvt_f32_f16_e32 v73, v72
	v_cvt_f32_f16_sdwa v72, v72 dst_sel:DWORD dst_unused:UNUSED_PAD src0_sel:WORD_1
	v_add_f32_e32 v72, v73, v72
	v_fmac_f32_e32 v42, v72, v46
	v_pk_fma_f16 v72, v60, v68, 0
	v_pk_fma_f16 v68, v64, v68, 0
	v_pk_fma_f16 v72, v61, v69, v72
	v_pk_fma_f16 v68, v65, v69, v68
	v_pk_fma_f16 v72, v62, v70, v72
	v_pk_fma_f16 v68, v66, v70, v68
	v_pk_fma_f16 v72, v63, v71, v72
	v_pk_fma_f16 v68, v67, v71, v68
	v_cvt_f32_f16_e32 v73, v72
	v_cvt_f32_f16_e32 v69, v68
	v_cvt_f32_f16_sdwa v68, v68 dst_sel:DWORD dst_unused:UNUSED_PAD src0_sel:WORD_1
	v_cvt_f32_f16_sdwa v72, v72 dst_sel:DWORD dst_unused:UNUSED_PAD src0_sel:WORD_1
	v_add_f32_e32 v68, v69, v68
	v_add_f32_e32 v72, v73, v72
	v_fmac_f32_e32 v38, v68, v48
	ds_read2_b32 v[68:69], v57 offset0:64 offset1:65
	v_fmac_f32_e32 v39, v72, v45
	s_waitcnt lgkmcnt(0)
	v_pk_fma_f16 v70, v7, v68, 0
	v_pk_fma_f16 v72, v6, v69, v70
	ds_read2_b32 v[70:71], v57 offset0:66 offset1:67
	s_waitcnt lgkmcnt(0)
	v_pk_fma_f16 v72, v4, v70, v72
	v_pk_fma_f16 v72, v5, v71, v72
	v_cvt_f32_f16_e32 v73, v72
	v_cvt_f32_f16_sdwa v72, v72 dst_sel:DWORD dst_unused:UNUSED_PAD src0_sel:WORD_1
	v_add_f32_e32 v72, v73, v72
	v_fmac_f32_e32 v37, v72, v47
	v_pk_fma_f16 v72, v8, v68, 0
	v_pk_fma_f16 v72, v9, v69, v72
	v_pk_fma_f16 v72, v58, v70, v72
	v_pk_fma_f16 v72, v59, v71, v72
	v_cvt_f32_f16_e32 v73, v72
	v_cvt_f32_f16_sdwa v72, v72 dst_sel:DWORD dst_unused:UNUSED_PAD src0_sel:WORD_1
	v_add_f32_e32 v72, v73, v72
	v_fmac_f32_e32 v36, v72, v46
	v_pk_fma_f16 v72, v60, v68, 0
	v_pk_fma_f16 v68, v64, v68, 0
	v_pk_fma_f16 v72, v61, v69, v72
	v_pk_fma_f16 v68, v65, v69, v68
	v_pk_fma_f16 v72, v62, v70, v72
	v_pk_fma_f16 v68, v66, v70, v68
	v_pk_fma_f16 v72, v63, v71, v72
	v_pk_fma_f16 v68, v67, v71, v68
	v_cvt_f32_f16_e32 v73, v72
	v_cvt_f32_f16_e32 v69, v68
	v_cvt_f32_f16_sdwa v68, v68 dst_sel:DWORD dst_unused:UNUSED_PAD src0_sel:WORD_1
	v_cvt_f32_f16_sdwa v72, v72 dst_sel:DWORD dst_unused:UNUSED_PAD src0_sel:WORD_1
	v_add_f32_e32 v68, v69, v68
	v_add_f32_e32 v72, v73, v72
	v_fmac_f32_e32 v34, v68, v48
	ds_read2_b32 v[68:69], v57 offset0:128 offset1:129
	v_fmac_f32_e32 v35, v72, v45
	;; [unrolled: 36-line block ×3, first 2 shown]
	s_waitcnt lgkmcnt(0)
	v_pk_fma_f16 v70, v7, v68, 0
	v_pk_fma_f16 v72, v6, v69, v70
	ds_read2_b32 v[70:71], v57 offset0:194 offset1:195
	s_waitcnt lgkmcnt(0)
	v_pk_fma_f16 v72, v4, v70, v72
	v_pk_fma_f16 v72, v5, v71, v72
	v_cvt_f32_f16_e32 v73, v72
	v_cvt_f32_f16_sdwa v72, v72 dst_sel:DWORD dst_unused:UNUSED_PAD src0_sel:WORD_1
	v_add_f32_e32 v72, v73, v72
	v_fmac_f32_e32 v29, v72, v47
	v_pk_fma_f16 v72, v8, v68, 0
	v_pk_fma_f16 v72, v9, v69, v72
	v_pk_fma_f16 v72, v58, v70, v72
	v_pk_fma_f16 v72, v59, v71, v72
	v_cvt_f32_f16_e32 v73, v72
	v_cvt_f32_f16_sdwa v72, v72 dst_sel:DWORD dst_unused:UNUSED_PAD src0_sel:WORD_1
	v_add_f32_e32 v72, v73, v72
	v_fmac_f32_e32 v28, v72, v46
	v_pk_fma_f16 v72, v60, v68, 0
	v_pk_fma_f16 v68, v64, v68, 0
	v_pk_fma_f16 v72, v61, v69, v72
	v_pk_fma_f16 v68, v65, v69, v68
	v_pk_fma_f16 v72, v62, v70, v72
	v_pk_fma_f16 v68, v66, v70, v68
	v_pk_fma_f16 v72, v63, v71, v72
	v_pk_fma_f16 v68, v67, v71, v68
	v_cvt_f32_f16_e32 v73, v72
	v_cvt_f32_f16_e32 v69, v68
	v_cvt_f32_f16_sdwa v68, v68 dst_sel:DWORD dst_unused:UNUSED_PAD src0_sel:WORD_1
	v_cvt_f32_f16_sdwa v72, v72 dst_sel:DWORD dst_unused:UNUSED_PAD src0_sel:WORD_1
	v_add_f32_e32 v68, v69, v68
	v_add_f32_e32 v72, v73, v72
	v_fmac_f32_e32 v26, v68, v48
	v_mov_b32_e32 v68, s21
	s_add_i32 s21, s17, 0x408
	v_fmac_f32_e32 v27, v72, v45
	ds_read2_b32 v[68:69], v68 offset1:1
	s_waitcnt lgkmcnt(0)
	v_pk_fma_f16 v70, v7, v68, 0
	v_pk_fma_f16 v72, v6, v69, v70
	v_mov_b32_e32 v70, s21
	s_add_i32 s21, s17, 0x500
	ds_read2_b32 v[70:71], v70 offset1:1
	s_waitcnt lgkmcnt(0)
	v_pk_fma_f16 v72, v4, v70, v72
	v_pk_fma_f16 v72, v5, v71, v72
	v_cvt_f32_f16_e32 v73, v72
	v_cvt_f32_f16_sdwa v72, v72 dst_sel:DWORD dst_unused:UNUSED_PAD src0_sel:WORD_1
	v_add_f32_e32 v72, v73, v72
	v_fmac_f32_e32 v25, v72, v47
	v_pk_fma_f16 v72, v8, v68, 0
	v_pk_fma_f16 v72, v9, v69, v72
	v_pk_fma_f16 v72, v58, v70, v72
	v_pk_fma_f16 v72, v59, v71, v72
	v_cvt_f32_f16_e32 v73, v72
	v_cvt_f32_f16_sdwa v72, v72 dst_sel:DWORD dst_unused:UNUSED_PAD src0_sel:WORD_1
	v_add_f32_e32 v72, v73, v72
	v_fmac_f32_e32 v24, v72, v46
	v_pk_fma_f16 v72, v60, v68, 0
	v_pk_fma_f16 v68, v64, v68, 0
	v_pk_fma_f16 v72, v61, v69, v72
	v_pk_fma_f16 v68, v65, v69, v68
	v_pk_fma_f16 v72, v62, v70, v72
	v_pk_fma_f16 v68, v66, v70, v68
	v_pk_fma_f16 v72, v63, v71, v72
	v_pk_fma_f16 v68, v67, v71, v68
	v_cvt_f32_f16_e32 v73, v72
	v_cvt_f32_f16_e32 v69, v68
	v_cvt_f32_f16_sdwa v68, v68 dst_sel:DWORD dst_unused:UNUSED_PAD src0_sel:WORD_1
	v_cvt_f32_f16_sdwa v72, v72 dst_sel:DWORD dst_unused:UNUSED_PAD src0_sel:WORD_1
	v_add_f32_e32 v68, v69, v68
	v_add_f32_e32 v72, v73, v72
	v_fmac_f32_e32 v22, v68, v48
	v_mov_b32_e32 v68, s21
	s_add_i32 s21, s17, 0x508
	v_fmac_f32_e32 v23, v72, v45
	ds_read2_b32 v[68:69], v68 offset1:1
	s_waitcnt lgkmcnt(0)
	v_pk_fma_f16 v70, v7, v68, 0
	v_pk_fma_f16 v72, v6, v69, v70
	v_mov_b32_e32 v70, s21
	s_add_i32 s21, s17, 0x600
	ds_read2_b32 v[70:71], v70 offset1:1
	;; [unrolled: 40-line block ×4, first 2 shown]
	s_waitcnt lgkmcnt(0)
	v_pk_fma_f16 v4, v4, v6, v70
	v_pk_fma_f16 v4, v5, v7, v4
	v_cvt_f32_f16_e32 v5, v4
	v_cvt_f32_f16_sdwa v4, v4 dst_sel:DWORD dst_unused:UNUSED_PAD src0_sel:WORD_1
	v_add_f32_e32 v4, v5, v4
	v_fmac_f32_e32 v12, v4, v47
	v_pk_fma_f16 v4, v8, v68, 0
	v_pk_fma_f16 v4, v9, v69, v4
	v_pk_fma_f16 v4, v58, v6, v4
	v_pk_fma_f16 v4, v59, v7, v4
	v_cvt_f32_f16_e32 v5, v4
	v_cvt_f32_f16_sdwa v4, v4 dst_sel:DWORD dst_unused:UNUSED_PAD src0_sel:WORD_1
	v_add_f32_e32 v4, v5, v4
	v_fmac_f32_e32 v11, v4, v46
	v_pk_fma_f16 v4, v60, v68, 0
	v_pk_fma_f16 v4, v61, v69, v4
	;; [unrolled: 8-line block ×3, first 2 shown]
	v_pk_fma_f16 v4, v66, v6, v4
	v_pk_fma_f16 v4, v67, v7, v4
	v_cvt_f32_f16_e32 v5, v4
	v_cvt_f32_f16_sdwa v4, v4 dst_sel:DWORD dst_unused:UNUSED_PAD src0_sel:WORD_1
	v_add_f32_e32 v4, v5, v4
	v_fmac_f32_e32 v13, v4, v48
	v_add_co_u32 v4, vcc_lo, v2, s4
	v_add_co_ci_u32_e64 v5, null, s5, v3, vcc_lo
	global_load_dwordx4 v[6:9], v[4:5], off
	v_add_co_u32 v4, vcc_lo, v4, s4
	v_add_co_ci_u32_e64 v5, null, s5, v5, vcc_lo
	s_waitcnt vmcnt(0)
	v_and_or_b32 v58, v6, s1, 0x64006400
	v_and_or_b32 v59, v6, s9, 0x64006400
	v_lshrrev_b32_e32 v6, 8, v6
	v_pk_add_f16 v73, v49, v58
	v_and_or_b32 v58, v7, s9, 0x64006400
	v_and_or_b32 v60, v6, s1, 0x64006400
	;; [unrolled: 1-line block ×3, first 2 shown]
	v_pk_fma_f16 v72, 0x2c00, v59, v53 op_sel_hi:[0,1,1]
	v_pk_fma_f16 v61, 0x2c00, v58, v56 op_sel_hi:[0,1,1]
	v_pk_add_f16 v70, v49, v60
	v_pk_fma_f16 v71, 0x2c00, v6, v53 op_sel_hi:[0,1,1]
	v_and_or_b32 v6, v7, s1, 0x64006400
	v_lshrrev_b32_e32 v7, 8, v7
	v_pk_add_f16 v60, v52, v6
	v_and_or_b32 v59, v7, s1, 0x64006400
	v_and_or_b32 v7, v7, s9, 0x64006400
	;; [unrolled: 1-line block ×3, first 2 shown]
	v_pk_add_f16 v62, v52, v59
	v_pk_fma_f16 v63, 0x2c00, v7, v56 op_sel_hi:[0,1,1]
	v_and_or_b32 v7, v8, s9, 0x64006400
	v_pk_add_f16 v64, v51, v6
	v_and_or_b32 v6, v9, s1, 0x64006400
	v_lshrrev_b32_e32 v8, 8, v8
	v_pk_fma_f16 v65, 0x2c00, v7, v55 op_sel_hi:[0,1,1]
	v_and_or_b32 v7, v9, s9, 0x64006400
	v_pk_add_f16 v68, v50, v6
	v_and_or_b32 v58, v8, s1, 0x64006400
	v_and_or_b32 v8, v8, s9, 0x64006400
	v_pk_fma_f16 v69, 0x2c00, v7, v54 op_sel_hi:[0,1,1]
	ds_read2_b32 v[6:7], v57 offset0:4 offset1:5
	v_pk_add_f16 v66, v51, v58
	v_pk_fma_f16 v67, 0x2c00, v8, v55 op_sel_hi:[0,1,1]
	v_lshrrev_b32_e32 v8, 8, v9
	v_and_or_b32 v9, v8, s1, 0x64006400
	v_and_or_b32 v8, v8, s9, 0x64006400
	v_pk_add_f16 v59, v50, v9
	v_pk_fma_f16 v58, 0x2c00, v8, v54 op_sel_hi:[0,1,1]
	s_waitcnt lgkmcnt(0)
	v_pk_fma_f16 v8, v73, v6, 0
	v_pk_fma_f16 v74, v72, v7, v8
	ds_read2_b32 v[8:9], v57 offset0:6 offset1:7
	s_waitcnt lgkmcnt(0)
	v_pk_fma_f16 v74, v70, v8, v74
	v_pk_fma_f16 v74, v71, v9, v74
	v_cvt_f32_f16_e32 v75, v74
	v_cvt_f32_f16_sdwa v74, v74 dst_sel:DWORD dst_unused:UNUSED_PAD src0_sel:WORD_1
	v_add_f32_e32 v74, v75, v74
	v_fmac_f32_e32 v40, v74, v47
	v_pk_fma_f16 v74, v60, v6, 0
	v_pk_fma_f16 v74, v61, v7, v74
	v_pk_fma_f16 v74, v62, v8, v74
	v_pk_fma_f16 v74, v63, v9, v74
	v_cvt_f32_f16_e32 v75, v74
	v_cvt_f32_f16_sdwa v74, v74 dst_sel:DWORD dst_unused:UNUSED_PAD src0_sel:WORD_1
	v_add_f32_e32 v74, v75, v74
	v_fmac_f32_e32 v42, v74, v46
	v_pk_fma_f16 v74, v64, v6, 0
	v_pk_fma_f16 v6, v68, v6, 0
	v_pk_fma_f16 v74, v65, v7, v74
	v_pk_fma_f16 v6, v69, v7, v6
	v_pk_fma_f16 v74, v66, v8, v74
	v_pk_fma_f16 v6, v59, v8, v6
	v_pk_fma_f16 v74, v67, v9, v74
	v_pk_fma_f16 v6, v58, v9, v6
	v_cvt_f32_f16_e32 v75, v74
	v_cvt_f32_f16_e32 v7, v6
	v_cvt_f32_f16_sdwa v6, v6 dst_sel:DWORD dst_unused:UNUSED_PAD src0_sel:WORD_1
	v_cvt_f32_f16_sdwa v74, v74 dst_sel:DWORD dst_unused:UNUSED_PAD src0_sel:WORD_1
	v_add_f32_e32 v6, v7, v6
	v_add_f32_e32 v74, v75, v74
	v_fmac_f32_e32 v38, v6, v48
	ds_read2_b32 v[6:7], v57 offset0:68 offset1:69
	v_fmac_f32_e32 v39, v74, v45
	s_waitcnt lgkmcnt(0)
	v_pk_fma_f16 v8, v73, v6, 0
	v_pk_fma_f16 v74, v72, v7, v8
	ds_read2_b32 v[8:9], v57 offset0:70 offset1:71
	s_waitcnt lgkmcnt(0)
	v_pk_fma_f16 v74, v70, v8, v74
	v_pk_fma_f16 v74, v71, v9, v74
	v_cvt_f32_f16_e32 v75, v74
	v_cvt_f32_f16_sdwa v74, v74 dst_sel:DWORD dst_unused:UNUSED_PAD src0_sel:WORD_1
	v_add_f32_e32 v74, v75, v74
	v_fmac_f32_e32 v37, v74, v47
	v_pk_fma_f16 v74, v60, v6, 0
	v_pk_fma_f16 v74, v61, v7, v74
	v_pk_fma_f16 v74, v62, v8, v74
	v_pk_fma_f16 v74, v63, v9, v74
	v_cvt_f32_f16_e32 v75, v74
	v_cvt_f32_f16_sdwa v74, v74 dst_sel:DWORD dst_unused:UNUSED_PAD src0_sel:WORD_1
	v_add_f32_e32 v74, v75, v74
	v_fmac_f32_e32 v36, v74, v46
	v_pk_fma_f16 v74, v64, v6, 0
	v_pk_fma_f16 v6, v68, v6, 0
	v_pk_fma_f16 v74, v65, v7, v74
	v_pk_fma_f16 v6, v69, v7, v6
	v_pk_fma_f16 v74, v66, v8, v74
	v_pk_fma_f16 v6, v59, v8, v6
	v_pk_fma_f16 v74, v67, v9, v74
	v_pk_fma_f16 v6, v58, v9, v6
	v_cvt_f32_f16_e32 v75, v74
	v_cvt_f32_f16_e32 v7, v6
	v_cvt_f32_f16_sdwa v6, v6 dst_sel:DWORD dst_unused:UNUSED_PAD src0_sel:WORD_1
	v_cvt_f32_f16_sdwa v74, v74 dst_sel:DWORD dst_unused:UNUSED_PAD src0_sel:WORD_1
	v_add_f32_e32 v6, v7, v6
	v_add_f32_e32 v74, v75, v74
	v_fmac_f32_e32 v34, v6, v48
	ds_read2_b32 v[6:7], v57 offset0:132 offset1:133
	v_fmac_f32_e32 v35, v74, v45
	;; [unrolled: 36-line block ×3, first 2 shown]
	s_waitcnt lgkmcnt(0)
	v_pk_fma_f16 v8, v73, v6, 0
	v_pk_fma_f16 v74, v72, v7, v8
	ds_read2_b32 v[8:9], v57 offset0:198 offset1:199
	s_waitcnt lgkmcnt(0)
	v_pk_fma_f16 v74, v70, v8, v74
	v_pk_fma_f16 v74, v71, v9, v74
	v_cvt_f32_f16_e32 v75, v74
	v_cvt_f32_f16_sdwa v74, v74 dst_sel:DWORD dst_unused:UNUSED_PAD src0_sel:WORD_1
	v_add_f32_e32 v74, v75, v74
	v_fmac_f32_e32 v29, v74, v47
	v_pk_fma_f16 v74, v60, v6, 0
	v_pk_fma_f16 v74, v61, v7, v74
	v_pk_fma_f16 v74, v62, v8, v74
	v_pk_fma_f16 v74, v63, v9, v74
	v_cvt_f32_f16_e32 v75, v74
	v_cvt_f32_f16_sdwa v74, v74 dst_sel:DWORD dst_unused:UNUSED_PAD src0_sel:WORD_1
	v_add_f32_e32 v74, v75, v74
	v_fmac_f32_e32 v28, v74, v46
	v_pk_fma_f16 v74, v64, v6, 0
	v_pk_fma_f16 v6, v68, v6, 0
	v_pk_fma_f16 v74, v65, v7, v74
	v_pk_fma_f16 v6, v69, v7, v6
	v_pk_fma_f16 v74, v66, v8, v74
	v_pk_fma_f16 v6, v59, v8, v6
	v_pk_fma_f16 v74, v67, v9, v74
	v_pk_fma_f16 v6, v58, v9, v6
	v_cvt_f32_f16_e32 v75, v74
	v_cvt_f32_f16_e32 v7, v6
	v_cvt_f32_f16_sdwa v6, v6 dst_sel:DWORD dst_unused:UNUSED_PAD src0_sel:WORD_1
	v_cvt_f32_f16_sdwa v74, v74 dst_sel:DWORD dst_unused:UNUSED_PAD src0_sel:WORD_1
	v_add_f32_e32 v6, v7, v6
	v_add_f32_e32 v74, v75, v74
	v_fmac_f32_e32 v26, v6, v48
	v_mov_b32_e32 v6, s21
	s_add_i32 s21, s17, 0x418
	v_fmac_f32_e32 v27, v74, v45
	ds_read2_b32 v[6:7], v6 offset1:1
	s_waitcnt lgkmcnt(0)
	v_pk_fma_f16 v8, v73, v6, 0
	v_pk_fma_f16 v74, v72, v7, v8
	v_mov_b32_e32 v8, s21
	s_add_i32 s21, s17, 0x510
	ds_read2_b32 v[8:9], v8 offset1:1
	s_waitcnt lgkmcnt(0)
	v_pk_fma_f16 v74, v70, v8, v74
	v_pk_fma_f16 v74, v71, v9, v74
	v_cvt_f32_f16_e32 v75, v74
	v_cvt_f32_f16_sdwa v74, v74 dst_sel:DWORD dst_unused:UNUSED_PAD src0_sel:WORD_1
	v_add_f32_e32 v74, v75, v74
	v_fmac_f32_e32 v25, v74, v47
	v_pk_fma_f16 v74, v60, v6, 0
	v_pk_fma_f16 v74, v61, v7, v74
	v_pk_fma_f16 v74, v62, v8, v74
	v_pk_fma_f16 v74, v63, v9, v74
	v_cvt_f32_f16_e32 v75, v74
	v_cvt_f32_f16_sdwa v74, v74 dst_sel:DWORD dst_unused:UNUSED_PAD src0_sel:WORD_1
	v_add_f32_e32 v74, v75, v74
	v_fmac_f32_e32 v24, v74, v46
	v_pk_fma_f16 v74, v64, v6, 0
	v_pk_fma_f16 v6, v68, v6, 0
	v_pk_fma_f16 v74, v65, v7, v74
	v_pk_fma_f16 v6, v69, v7, v6
	v_pk_fma_f16 v74, v66, v8, v74
	v_pk_fma_f16 v6, v59, v8, v6
	v_pk_fma_f16 v74, v67, v9, v74
	v_pk_fma_f16 v6, v58, v9, v6
	v_cvt_f32_f16_e32 v75, v74
	v_cvt_f32_f16_e32 v7, v6
	v_cvt_f32_f16_sdwa v6, v6 dst_sel:DWORD dst_unused:UNUSED_PAD src0_sel:WORD_1
	v_cvt_f32_f16_sdwa v74, v74 dst_sel:DWORD dst_unused:UNUSED_PAD src0_sel:WORD_1
	v_add_f32_e32 v6, v7, v6
	v_add_f32_e32 v74, v75, v74
	v_fmac_f32_e32 v22, v6, v48
	v_mov_b32_e32 v6, s21
	s_add_i32 s21, s17, 0x518
	v_fmac_f32_e32 v23, v74, v45
	ds_read2_b32 v[6:7], v6 offset1:1
	s_waitcnt lgkmcnt(0)
	v_pk_fma_f16 v8, v73, v6, 0
	v_pk_fma_f16 v74, v72, v7, v8
	v_mov_b32_e32 v8, s21
	s_add_i32 s21, s17, 0x610
	ds_read2_b32 v[8:9], v8 offset1:1
	;; [unrolled: 40-line block ×3, first 2 shown]
	s_waitcnt lgkmcnt(0)
	v_pk_fma_f16 v74, v70, v8, v74
	v_pk_fma_f16 v74, v71, v9, v74
	v_cvt_f32_f16_e32 v75, v74
	v_cvt_f32_f16_sdwa v74, v74 dst_sel:DWORD dst_unused:UNUSED_PAD src0_sel:WORD_1
	v_add_f32_e32 v74, v75, v74
	v_fmac_f32_e32 v17, v74, v47
	v_pk_fma_f16 v74, v60, v6, 0
	v_pk_fma_f16 v74, v61, v7, v74
	;; [unrolled: 1-line block ×4, first 2 shown]
	v_cvt_f32_f16_e32 v75, v74
	v_cvt_f32_f16_sdwa v74, v74 dst_sel:DWORD dst_unused:UNUSED_PAD src0_sel:WORD_1
	v_add_f32_e32 v74, v75, v74
	v_fmac_f32_e32 v16, v74, v46
	v_pk_fma_f16 v74, v64, v6, 0
	v_pk_fma_f16 v6, v68, v6, 0
	;; [unrolled: 1-line block ×8, first 2 shown]
	v_cvt_f32_f16_e32 v75, v74
	v_cvt_f32_f16_e32 v7, v6
	v_cvt_f32_f16_sdwa v6, v6 dst_sel:DWORD dst_unused:UNUSED_PAD src0_sel:WORD_1
	v_cvt_f32_f16_sdwa v74, v74 dst_sel:DWORD dst_unused:UNUSED_PAD src0_sel:WORD_1
	v_add_f32_e32 v6, v7, v6
	v_add_f32_e32 v74, v75, v74
	v_fmac_f32_e32 v14, v6, v48
	v_mov_b32_e32 v6, s21
	s_add_i32 s21, s17, 0x718
	v_fmac_f32_e32 v15, v74, v45
	ds_read2_b32 v[8:9], v6 offset1:1
	s_waitcnt lgkmcnt(0)
	v_pk_fma_f16 v6, v73, v8, 0
	v_pk_fma_f16 v60, v60, v8, 0
	;; [unrolled: 1-line block ×3, first 2 shown]
	v_mov_b32_e32 v6, s21
	v_pk_fma_f16 v60, v61, v9, v60
	s_add_i32 s21, s17, 0x420
	ds_read2_b32 v[6:7], v6 offset1:1
	s_waitcnt lgkmcnt(0)
	v_pk_fma_f16 v60, v62, v6, v60
	v_pk_fma_f16 v70, v70, v6, v72
	;; [unrolled: 1-line block ×4, first 2 shown]
	v_cvt_f32_f16_e32 v61, v60
	v_cvt_f32_f16_sdwa v60, v60 dst_sel:DWORD dst_unused:UNUSED_PAD src0_sel:WORD_1
	v_cvt_f32_f16_e32 v71, v70
	v_cvt_f32_f16_sdwa v70, v70 dst_sel:DWORD dst_unused:UNUSED_PAD src0_sel:WORD_1
	v_add_f32_e32 v60, v61, v60
	v_add_f32_e32 v70, v71, v70
	v_fmac_f32_e32 v11, v60, v46
	v_pk_fma_f16 v60, v64, v8, 0
	v_pk_fma_f16 v8, v68, v8, 0
	v_fmac_f32_e32 v12, v70, v47
	v_pk_fma_f16 v60, v65, v9, v60
	v_pk_fma_f16 v8, v69, v9, v8
	;; [unrolled: 1-line block ×3, first 2 shown]
	global_load_dwordx4 v[63:66], v[4:5], off
	v_pk_fma_f16 v6, v59, v6, v8
	v_add_co_u32 v4, vcc_lo, v4, s4
	v_pk_fma_f16 v60, v67, v7, v60
	v_add_co_ci_u32_e64 v5, null, s5, v5, vcc_lo
	v_pk_fma_f16 v6, v58, v7, v6
	v_add_co_u32 v2, vcc_lo, v2, s2
	v_cvt_f32_f16_e32 v61, v60
	v_cvt_f32_f16_sdwa v60, v60 dst_sel:DWORD dst_unused:UNUSED_PAD src0_sel:WORD_1
	v_cvt_f32_f16_e32 v7, v6
	v_cvt_f32_f16_sdwa v6, v6 dst_sel:DWORD dst_unused:UNUSED_PAD src0_sel:WORD_1
	v_add_co_ci_u32_e64 v3, null, s3, v3, vcc_lo
	v_add_f32_e32 v60, v61, v60
	v_add_f32_e32 v6, v7, v6
	v_fmac_f32_e32 v10, v60, v45
	v_fmac_f32_e32 v13, v6, v48
	s_waitcnt vmcnt(0)
	v_lshrrev_b32_e32 v8, 8, v63
	v_and_or_b32 v6, v63, s1, 0x64006400
	v_and_or_b32 v7, v63, s9, 0x64006400
	v_lshrrev_b32_e32 v60, 8, v64
	v_and_or_b32 v63, v65, s9, 0x64006400
	v_and_or_b32 v58, v8, s1, 0x64006400
	;; [unrolled: 1-line block ×3, first 2 shown]
	v_pk_add_f16 v9, v49, v6
	v_pk_fma_f16 v8, 0x2c00, v7, v53 op_sel_hi:[0,1,1]
	v_and_or_b32 v61, v60, s1, 0x64006400
	v_pk_add_f16 v6, v49, v58
	v_pk_fma_f16 v7, 0x2c00, v59, v53 op_sel_hi:[0,1,1]
	v_and_or_b32 v58, v64, s1, 0x64006400
	v_and_or_b32 v59, v64, s9, 0x64006400
	;; [unrolled: 1-line block ×3, first 2 shown]
	v_lshrrev_b32_e32 v64, 8, v65
	v_pk_add_f16 v60, v52, v61
	v_and_or_b32 v68, v66, s9, 0x64006400
	v_pk_add_f16 v58, v52, v58
	v_pk_fma_f16 v61, 0x2c00, v62, v56 op_sel_hi:[0,1,1]
	v_and_or_b32 v62, v65, s1, 0x64006400
	v_and_or_b32 v65, v64, s1, 0x64006400
	;; [unrolled: 1-line block ×3, first 2 shown]
	v_pk_fma_f16 v59, 0x2c00, v59, v56 op_sel_hi:[0,1,1]
	v_pk_fma_f16 v63, 0x2c00, v63, v55 op_sel_hi:[0,1,1]
	v_pk_add_f16 v62, v51, v62
	v_pk_add_f16 v64, v51, v65
	v_pk_fma_f16 v65, 0x2c00, v67, v55 op_sel_hi:[0,1,1]
	v_and_or_b32 v67, v66, s1, 0x64006400
	v_lshrrev_b32_e32 v66, 8, v66
	v_and_or_b32 v69, v66, s1, 0x64006400
	v_and_or_b32 v70, v66, s9, 0x64006400
	v_pk_add_f16 v66, v50, v67
	v_pk_fma_f16 v67, 0x2c00, v68, v54 op_sel_hi:[0,1,1]
	v_pk_add_f16 v68, v50, v69
	v_pk_fma_f16 v69, 0x2c00, v70, v54 op_sel_hi:[0,1,1]
	ds_read2_b32 v[70:71], v57 offset0:8 offset1:9
	s_waitcnt lgkmcnt(0)
	v_pk_fma_f16 v72, v9, v70, 0
	v_pk_fma_f16 v74, v8, v71, v72
	ds_read2_b32 v[72:73], v57 offset0:10 offset1:11
	s_waitcnt lgkmcnt(0)
	v_pk_fma_f16 v74, v6, v72, v74
	v_pk_fma_f16 v74, v7, v73, v74
	v_cvt_f32_f16_e32 v75, v74
	v_cvt_f32_f16_sdwa v74, v74 dst_sel:DWORD dst_unused:UNUSED_PAD src0_sel:WORD_1
	v_add_f32_e32 v74, v75, v74
	v_fmac_f32_e32 v40, v74, v47
	v_pk_fma_f16 v74, v58, v70, 0
	v_pk_fma_f16 v74, v59, v71, v74
	v_pk_fma_f16 v74, v60, v72, v74
	v_pk_fma_f16 v74, v61, v73, v74
	v_cvt_f32_f16_e32 v75, v74
	v_cvt_f32_f16_sdwa v74, v74 dst_sel:DWORD dst_unused:UNUSED_PAD src0_sel:WORD_1
	v_add_f32_e32 v74, v75, v74
	v_fmac_f32_e32 v42, v74, v46
	v_pk_fma_f16 v74, v62, v70, 0
	v_pk_fma_f16 v70, v66, v70, 0
	v_pk_fma_f16 v74, v63, v71, v74
	v_pk_fma_f16 v70, v67, v71, v70
	v_pk_fma_f16 v74, v64, v72, v74
	v_pk_fma_f16 v70, v68, v72, v70
	v_pk_fma_f16 v74, v65, v73, v74
	v_pk_fma_f16 v70, v69, v73, v70
	v_cvt_f32_f16_e32 v75, v74
	v_cvt_f32_f16_e32 v71, v70
	v_cvt_f32_f16_sdwa v70, v70 dst_sel:DWORD dst_unused:UNUSED_PAD src0_sel:WORD_1
	v_cvt_f32_f16_sdwa v74, v74 dst_sel:DWORD dst_unused:UNUSED_PAD src0_sel:WORD_1
	v_add_f32_e32 v70, v71, v70
	v_add_f32_e32 v74, v75, v74
	v_fmac_f32_e32 v38, v70, v48
	ds_read2_b32 v[70:71], v57 offset0:72 offset1:73
	v_fmac_f32_e32 v39, v74, v45
	s_waitcnt lgkmcnt(0)
	v_pk_fma_f16 v72, v9, v70, 0
	v_pk_fma_f16 v74, v8, v71, v72
	ds_read2_b32 v[72:73], v57 offset0:74 offset1:75
	s_waitcnt lgkmcnt(0)
	v_pk_fma_f16 v74, v6, v72, v74
	v_pk_fma_f16 v74, v7, v73, v74
	v_cvt_f32_f16_e32 v75, v74
	v_cvt_f32_f16_sdwa v74, v74 dst_sel:DWORD dst_unused:UNUSED_PAD src0_sel:WORD_1
	v_add_f32_e32 v74, v75, v74
	v_fmac_f32_e32 v37, v74, v47
	v_pk_fma_f16 v74, v58, v70, 0
	v_pk_fma_f16 v74, v59, v71, v74
	v_pk_fma_f16 v74, v60, v72, v74
	v_pk_fma_f16 v74, v61, v73, v74
	v_cvt_f32_f16_e32 v75, v74
	v_cvt_f32_f16_sdwa v74, v74 dst_sel:DWORD dst_unused:UNUSED_PAD src0_sel:WORD_1
	v_add_f32_e32 v74, v75, v74
	v_fmac_f32_e32 v36, v74, v46
	v_pk_fma_f16 v74, v62, v70, 0
	v_pk_fma_f16 v70, v66, v70, 0
	v_pk_fma_f16 v74, v63, v71, v74
	v_pk_fma_f16 v70, v67, v71, v70
	v_pk_fma_f16 v74, v64, v72, v74
	v_pk_fma_f16 v70, v68, v72, v70
	v_pk_fma_f16 v74, v65, v73, v74
	v_pk_fma_f16 v70, v69, v73, v70
	v_cvt_f32_f16_e32 v75, v74
	v_cvt_f32_f16_e32 v71, v70
	v_cvt_f32_f16_sdwa v70, v70 dst_sel:DWORD dst_unused:UNUSED_PAD src0_sel:WORD_1
	v_cvt_f32_f16_sdwa v74, v74 dst_sel:DWORD dst_unused:UNUSED_PAD src0_sel:WORD_1
	v_add_f32_e32 v70, v71, v70
	v_add_f32_e32 v74, v75, v74
	v_fmac_f32_e32 v34, v70, v48
	ds_read2_b32 v[70:71], v57 offset0:136 offset1:137
	v_fmac_f32_e32 v35, v74, v45
	;; [unrolled: 36-line block ×3, first 2 shown]
	s_waitcnt lgkmcnt(0)
	v_pk_fma_f16 v72, v9, v70, 0
	v_pk_fma_f16 v74, v8, v71, v72
	ds_read2_b32 v[72:73], v57 offset0:202 offset1:203
	s_waitcnt lgkmcnt(0)
	v_pk_fma_f16 v74, v6, v72, v74
	v_pk_fma_f16 v74, v7, v73, v74
	v_cvt_f32_f16_e32 v75, v74
	v_cvt_f32_f16_sdwa v74, v74 dst_sel:DWORD dst_unused:UNUSED_PAD src0_sel:WORD_1
	v_add_f32_e32 v74, v75, v74
	v_fmac_f32_e32 v29, v74, v47
	v_pk_fma_f16 v74, v58, v70, 0
	v_pk_fma_f16 v74, v59, v71, v74
	v_pk_fma_f16 v74, v60, v72, v74
	v_pk_fma_f16 v74, v61, v73, v74
	v_cvt_f32_f16_e32 v75, v74
	v_cvt_f32_f16_sdwa v74, v74 dst_sel:DWORD dst_unused:UNUSED_PAD src0_sel:WORD_1
	v_add_f32_e32 v74, v75, v74
	v_fmac_f32_e32 v28, v74, v46
	v_pk_fma_f16 v74, v62, v70, 0
	v_pk_fma_f16 v70, v66, v70, 0
	v_pk_fma_f16 v74, v63, v71, v74
	v_pk_fma_f16 v70, v67, v71, v70
	v_pk_fma_f16 v74, v64, v72, v74
	v_pk_fma_f16 v70, v68, v72, v70
	v_pk_fma_f16 v74, v65, v73, v74
	v_pk_fma_f16 v70, v69, v73, v70
	v_cvt_f32_f16_e32 v75, v74
	v_cvt_f32_f16_e32 v71, v70
	v_cvt_f32_f16_sdwa v70, v70 dst_sel:DWORD dst_unused:UNUSED_PAD src0_sel:WORD_1
	v_cvt_f32_f16_sdwa v74, v74 dst_sel:DWORD dst_unused:UNUSED_PAD src0_sel:WORD_1
	v_add_f32_e32 v70, v71, v70
	v_add_f32_e32 v74, v75, v74
	v_fmac_f32_e32 v26, v70, v48
	v_mov_b32_e32 v70, s21
	s_add_i32 s21, s17, 0x428
	v_fmac_f32_e32 v27, v74, v45
	ds_read2_b32 v[70:71], v70 offset1:1
	s_waitcnt lgkmcnt(0)
	v_pk_fma_f16 v72, v9, v70, 0
	v_pk_fma_f16 v74, v8, v71, v72
	v_mov_b32_e32 v72, s21
	s_add_i32 s21, s17, 0x520
	ds_read2_b32 v[72:73], v72 offset1:1
	s_waitcnt lgkmcnt(0)
	v_pk_fma_f16 v74, v6, v72, v74
	v_pk_fma_f16 v74, v7, v73, v74
	v_cvt_f32_f16_e32 v75, v74
	v_cvt_f32_f16_sdwa v74, v74 dst_sel:DWORD dst_unused:UNUSED_PAD src0_sel:WORD_1
	v_add_f32_e32 v74, v75, v74
	v_fmac_f32_e32 v25, v74, v47
	v_pk_fma_f16 v74, v58, v70, 0
	v_pk_fma_f16 v74, v59, v71, v74
	v_pk_fma_f16 v74, v60, v72, v74
	v_pk_fma_f16 v74, v61, v73, v74
	v_cvt_f32_f16_e32 v75, v74
	v_cvt_f32_f16_sdwa v74, v74 dst_sel:DWORD dst_unused:UNUSED_PAD src0_sel:WORD_1
	v_add_f32_e32 v74, v75, v74
	v_fmac_f32_e32 v24, v74, v46
	v_pk_fma_f16 v74, v62, v70, 0
	v_pk_fma_f16 v70, v66, v70, 0
	v_pk_fma_f16 v74, v63, v71, v74
	v_pk_fma_f16 v70, v67, v71, v70
	v_pk_fma_f16 v74, v64, v72, v74
	v_pk_fma_f16 v70, v68, v72, v70
	v_pk_fma_f16 v74, v65, v73, v74
	v_pk_fma_f16 v70, v69, v73, v70
	v_cvt_f32_f16_e32 v75, v74
	v_cvt_f32_f16_e32 v71, v70
	v_cvt_f32_f16_sdwa v70, v70 dst_sel:DWORD dst_unused:UNUSED_PAD src0_sel:WORD_1
	v_cvt_f32_f16_sdwa v74, v74 dst_sel:DWORD dst_unused:UNUSED_PAD src0_sel:WORD_1
	v_add_f32_e32 v70, v71, v70
	v_add_f32_e32 v74, v75, v74
	v_fmac_f32_e32 v22, v70, v48
	v_mov_b32_e32 v70, s21
	s_add_i32 s21, s17, 0x528
	v_fmac_f32_e32 v23, v74, v45
	ds_read2_b32 v[70:71], v70 offset1:1
	s_waitcnt lgkmcnt(0)
	v_pk_fma_f16 v72, v9, v70, 0
	v_pk_fma_f16 v74, v8, v71, v72
	v_mov_b32_e32 v72, s21
	s_add_i32 s21, s17, 0x620
	ds_read2_b32 v[72:73], v72 offset1:1
	;; [unrolled: 40-line block ×4, first 2 shown]
	s_waitcnt lgkmcnt(0)
	v_pk_fma_f16 v6, v6, v8, v72
	v_pk_fma_f16 v6, v7, v9, v6
	v_cvt_f32_f16_e32 v7, v6
	v_cvt_f32_f16_sdwa v6, v6 dst_sel:DWORD dst_unused:UNUSED_PAD src0_sel:WORD_1
	v_add_f32_e32 v6, v7, v6
	v_fmac_f32_e32 v12, v6, v47
	v_pk_fma_f16 v6, v58, v70, 0
	v_pk_fma_f16 v6, v59, v71, v6
	v_pk_fma_f16 v6, v60, v8, v6
	v_pk_fma_f16 v6, v61, v9, v6
	v_cvt_f32_f16_e32 v7, v6
	v_cvt_f32_f16_sdwa v6, v6 dst_sel:DWORD dst_unused:UNUSED_PAD src0_sel:WORD_1
	v_add_f32_e32 v6, v7, v6
	v_fmac_f32_e32 v11, v6, v46
	v_pk_fma_f16 v6, v62, v70, 0
	v_pk_fma_f16 v6, v63, v71, v6
	;; [unrolled: 8-line block ×3, first 2 shown]
	v_pk_fma_f16 v6, v68, v8, v6
	v_pk_fma_f16 v6, v69, v9, v6
	v_cvt_f32_f16_e32 v7, v6
	v_cvt_f32_f16_sdwa v6, v6 dst_sel:DWORD dst_unused:UNUSED_PAD src0_sel:WORD_1
	v_add_f32_e32 v6, v7, v6
	v_fmac_f32_e32 v13, v6, v48
	global_load_dwordx4 v[4:7], v[4:5], off
	s_waitcnt vmcnt(0)
	v_and_or_b32 v8, v4, s1, 0x64006400
	v_and_or_b32 v9, v4, s9, 0x64006400
	v_lshrrev_b32_e32 v4, 8, v4
	v_pk_add_f16 v71, v49, v8
	v_and_or_b32 v8, v5, s9, 0x64006400
	v_and_or_b32 v58, v4, s1, 0x64006400
	;; [unrolled: 1-line block ×3, first 2 shown]
	v_pk_fma_f16 v70, 0x2c00, v9, v53 op_sel_hi:[0,1,1]
	v_pk_fma_f16 v65, 0x2c00, v8, v56 op_sel_hi:[0,1,1]
	v_pk_add_f16 v68, v49, v58
	v_pk_fma_f16 v69, 0x2c00, v4, v53 op_sel_hi:[0,1,1]
	v_and_or_b32 v4, v5, s1, 0x64006400
	v_lshrrev_b32_e32 v5, 8, v5
	v_pk_add_f16 v64, v52, v4
	v_and_or_b32 v9, v5, s1, 0x64006400
	v_and_or_b32 v5, v5, s9, 0x64006400
	;; [unrolled: 1-line block ×3, first 2 shown]
	v_pk_add_f16 v66, v52, v9
	v_pk_fma_f16 v67, 0x2c00, v5, v56 op_sel_hi:[0,1,1]
	v_and_or_b32 v5, v6, s9, 0x64006400
	v_pk_add_f16 v60, v51, v4
	v_and_or_b32 v4, v7, s1, 0x64006400
	v_lshrrev_b32_e32 v6, 8, v6
	v_pk_fma_f16 v61, 0x2c00, v5, v55 op_sel_hi:[0,1,1]
	v_and_or_b32 v5, v7, s9, 0x64006400
	v_pk_add_f16 v58, v50, v4
	v_and_or_b32 v8, v6, s1, 0x64006400
	v_and_or_b32 v6, v6, s9, 0x64006400
	v_pk_fma_f16 v59, 0x2c00, v5, v54 op_sel_hi:[0,1,1]
	ds_read2_b32 v[4:5], v57 offset0:12 offset1:13
	v_pk_add_f16 v62, v51, v8
	v_pk_fma_f16 v63, 0x2c00, v6, v55 op_sel_hi:[0,1,1]
	v_lshrrev_b32_e32 v6, 8, v7
	v_and_or_b32 v7, v6, s1, 0x64006400
	v_and_or_b32 v6, v6, s9, 0x64006400
	v_pk_add_f16 v9, v50, v7
	v_pk_fma_f16 v8, 0x2c00, v6, v54 op_sel_hi:[0,1,1]
	s_waitcnt lgkmcnt(0)
	v_pk_fma_f16 v6, v71, v4, 0
	v_pk_fma_f16 v72, v70, v5, v6
	ds_read2_b32 v[6:7], v57 offset0:14 offset1:15
	s_waitcnt lgkmcnt(0)
	v_pk_fma_f16 v72, v68, v6, v72
	v_pk_fma_f16 v72, v69, v7, v72
	v_cvt_f32_f16_e32 v73, v72
	v_cvt_f32_f16_sdwa v72, v72 dst_sel:DWORD dst_unused:UNUSED_PAD src0_sel:WORD_1
	v_add_f32_e32 v72, v73, v72
	v_fmac_f32_e32 v40, v72, v47
	v_pk_fma_f16 v72, v64, v4, 0
	v_pk_fma_f16 v72, v65, v5, v72
	v_pk_fma_f16 v72, v66, v6, v72
	v_pk_fma_f16 v72, v67, v7, v72
	v_cvt_f32_f16_e32 v73, v72
	v_cvt_f32_f16_sdwa v72, v72 dst_sel:DWORD dst_unused:UNUSED_PAD src0_sel:WORD_1
	v_add_f32_e32 v72, v73, v72
	v_fmac_f32_e32 v42, v72, v46
	v_pk_fma_f16 v72, v60, v4, 0
	v_pk_fma_f16 v4, v58, v4, 0
	v_pk_fma_f16 v72, v61, v5, v72
	v_pk_fma_f16 v4, v59, v5, v4
	v_pk_fma_f16 v72, v62, v6, v72
	v_pk_fma_f16 v4, v9, v6, v4
	v_pk_fma_f16 v72, v63, v7, v72
	v_pk_fma_f16 v4, v8, v7, v4
	v_cvt_f32_f16_e32 v73, v72
	v_cvt_f32_f16_e32 v5, v4
	v_cvt_f32_f16_sdwa v4, v4 dst_sel:DWORD dst_unused:UNUSED_PAD src0_sel:WORD_1
	v_cvt_f32_f16_sdwa v72, v72 dst_sel:DWORD dst_unused:UNUSED_PAD src0_sel:WORD_1
	v_add_f32_e32 v4, v5, v4
	v_add_f32_e32 v72, v73, v72
	v_fmac_f32_e32 v38, v4, v48
	ds_read2_b32 v[4:5], v57 offset0:76 offset1:77
	v_fmac_f32_e32 v39, v72, v45
	s_waitcnt lgkmcnt(0)
	v_pk_fma_f16 v6, v71, v4, 0
	v_pk_fma_f16 v72, v70, v5, v6
	ds_read2_b32 v[6:7], v57 offset0:78 offset1:79
	s_waitcnt lgkmcnt(0)
	v_pk_fma_f16 v72, v68, v6, v72
	v_pk_fma_f16 v72, v69, v7, v72
	v_cvt_f32_f16_e32 v73, v72
	v_cvt_f32_f16_sdwa v72, v72 dst_sel:DWORD dst_unused:UNUSED_PAD src0_sel:WORD_1
	v_add_f32_e32 v72, v73, v72
	v_fmac_f32_e32 v37, v72, v47
	v_pk_fma_f16 v72, v64, v4, 0
	v_pk_fma_f16 v72, v65, v5, v72
	v_pk_fma_f16 v72, v66, v6, v72
	v_pk_fma_f16 v72, v67, v7, v72
	v_cvt_f32_f16_e32 v73, v72
	v_cvt_f32_f16_sdwa v72, v72 dst_sel:DWORD dst_unused:UNUSED_PAD src0_sel:WORD_1
	v_add_f32_e32 v72, v73, v72
	v_fmac_f32_e32 v36, v72, v46
	v_pk_fma_f16 v72, v60, v4, 0
	v_pk_fma_f16 v4, v58, v4, 0
	v_pk_fma_f16 v72, v61, v5, v72
	v_pk_fma_f16 v4, v59, v5, v4
	v_pk_fma_f16 v72, v62, v6, v72
	v_pk_fma_f16 v4, v9, v6, v4
	v_pk_fma_f16 v72, v63, v7, v72
	v_pk_fma_f16 v4, v8, v7, v4
	v_cvt_f32_f16_e32 v73, v72
	v_cvt_f32_f16_e32 v5, v4
	v_cvt_f32_f16_sdwa v4, v4 dst_sel:DWORD dst_unused:UNUSED_PAD src0_sel:WORD_1
	v_cvt_f32_f16_sdwa v72, v72 dst_sel:DWORD dst_unused:UNUSED_PAD src0_sel:WORD_1
	v_add_f32_e32 v4, v5, v4
	v_add_f32_e32 v72, v73, v72
	v_fmac_f32_e32 v34, v4, v48
	ds_read2_b32 v[4:5], v57 offset0:140 offset1:141
	v_fmac_f32_e32 v35, v72, v45
	;; [unrolled: 36-line block ×3, first 2 shown]
	s_waitcnt lgkmcnt(0)
	v_pk_fma_f16 v6, v71, v4, 0
	v_pk_fma_f16 v72, v70, v5, v6
	ds_read2_b32 v[6:7], v57 offset0:206 offset1:207
	s_waitcnt lgkmcnt(0)
	v_pk_fma_f16 v57, v68, v6, v72
	v_pk_fma_f16 v57, v69, v7, v57
	v_cvt_f32_f16_e32 v72, v57
	v_cvt_f32_f16_sdwa v57, v57 dst_sel:DWORD dst_unused:UNUSED_PAD src0_sel:WORD_1
	v_add_f32_e32 v57, v72, v57
	v_fmac_f32_e32 v29, v57, v47
	v_pk_fma_f16 v57, v64, v4, 0
	v_pk_fma_f16 v57, v65, v5, v57
	v_pk_fma_f16 v57, v66, v6, v57
	v_pk_fma_f16 v57, v67, v7, v57
	v_cvt_f32_f16_e32 v72, v57
	v_cvt_f32_f16_sdwa v57, v57 dst_sel:DWORD dst_unused:UNUSED_PAD src0_sel:WORD_1
	v_add_f32_e32 v57, v72, v57
	v_fmac_f32_e32 v28, v57, v46
	v_pk_fma_f16 v57, v60, v4, 0
	v_pk_fma_f16 v4, v58, v4, 0
	v_pk_fma_f16 v57, v61, v5, v57
	v_pk_fma_f16 v4, v59, v5, v4
	v_pk_fma_f16 v57, v62, v6, v57
	v_pk_fma_f16 v4, v9, v6, v4
	v_pk_fma_f16 v57, v63, v7, v57
	v_pk_fma_f16 v4, v8, v7, v4
	v_cvt_f32_f16_e32 v72, v57
	v_cvt_f32_f16_e32 v5, v4
	v_cvt_f32_f16_sdwa v4, v4 dst_sel:DWORD dst_unused:UNUSED_PAD src0_sel:WORD_1
	v_cvt_f32_f16_sdwa v57, v57 dst_sel:DWORD dst_unused:UNUSED_PAD src0_sel:WORD_1
	v_add_f32_e32 v4, v5, v4
	v_add_f32_e32 v57, v72, v57
	v_fmac_f32_e32 v26, v4, v48
	v_mov_b32_e32 v4, s21
	s_add_i32 s21, s17, 0x438
	v_fmac_f32_e32 v27, v57, v45
	ds_read2_b32 v[4:5], v4 offset1:1
	s_waitcnt lgkmcnt(0)
	v_pk_fma_f16 v6, v71, v4, 0
	v_pk_fma_f16 v57, v70, v5, v6
	v_mov_b32_e32 v6, s21
	s_add_i32 s21, s17, 0x530
	ds_read2_b32 v[6:7], v6 offset1:1
	s_waitcnt lgkmcnt(0)
	v_pk_fma_f16 v57, v68, v6, v57
	v_pk_fma_f16 v57, v69, v7, v57
	v_cvt_f32_f16_e32 v72, v57
	v_cvt_f32_f16_sdwa v57, v57 dst_sel:DWORD dst_unused:UNUSED_PAD src0_sel:WORD_1
	v_add_f32_e32 v57, v72, v57
	v_fmac_f32_e32 v25, v57, v47
	v_pk_fma_f16 v57, v64, v4, 0
	v_pk_fma_f16 v57, v65, v5, v57
	v_pk_fma_f16 v57, v66, v6, v57
	v_pk_fma_f16 v57, v67, v7, v57
	v_cvt_f32_f16_e32 v72, v57
	v_cvt_f32_f16_sdwa v57, v57 dst_sel:DWORD dst_unused:UNUSED_PAD src0_sel:WORD_1
	v_add_f32_e32 v57, v72, v57
	v_fmac_f32_e32 v24, v57, v46
	v_pk_fma_f16 v57, v60, v4, 0
	v_pk_fma_f16 v4, v58, v4, 0
	v_pk_fma_f16 v57, v61, v5, v57
	v_pk_fma_f16 v4, v59, v5, v4
	v_pk_fma_f16 v57, v62, v6, v57
	v_pk_fma_f16 v4, v9, v6, v4
	v_pk_fma_f16 v57, v63, v7, v57
	v_pk_fma_f16 v4, v8, v7, v4
	v_cvt_f32_f16_e32 v72, v57
	v_cvt_f32_f16_e32 v5, v4
	v_cvt_f32_f16_sdwa v4, v4 dst_sel:DWORD dst_unused:UNUSED_PAD src0_sel:WORD_1
	v_cvt_f32_f16_sdwa v57, v57 dst_sel:DWORD dst_unused:UNUSED_PAD src0_sel:WORD_1
	v_add_f32_e32 v4, v5, v4
	v_add_f32_e32 v57, v72, v57
	v_fmac_f32_e32 v22, v4, v48
	v_mov_b32_e32 v4, s21
	s_add_i32 s21, s17, 0x538
	v_fmac_f32_e32 v23, v57, v45
	ds_read2_b32 v[4:5], v4 offset1:1
	s_waitcnt lgkmcnt(0)
	v_pk_fma_f16 v6, v71, v4, 0
	v_pk_fma_f16 v57, v70, v5, v6
	v_mov_b32_e32 v6, s21
	s_add_i32 s21, s17, 0x630
	ds_read2_b32 v[6:7], v6 offset1:1
	;; [unrolled: 40-line block ×3, first 2 shown]
	s_waitcnt lgkmcnt(0)
	v_pk_fma_f16 v57, v68, v6, v57
	v_pk_fma_f16 v57, v69, v7, v57
	v_cvt_f32_f16_e32 v72, v57
	v_cvt_f32_f16_sdwa v57, v57 dst_sel:DWORD dst_unused:UNUSED_PAD src0_sel:WORD_1
	v_add_f32_e32 v57, v72, v57
	v_fmac_f32_e32 v17, v57, v47
	v_pk_fma_f16 v57, v64, v4, 0
	v_pk_fma_f16 v57, v65, v5, v57
	;; [unrolled: 1-line block ×4, first 2 shown]
	v_cvt_f32_f16_e32 v72, v57
	v_cvt_f32_f16_sdwa v57, v57 dst_sel:DWORD dst_unused:UNUSED_PAD src0_sel:WORD_1
	v_add_f32_e32 v57, v72, v57
	v_fmac_f32_e32 v16, v57, v46
	v_pk_fma_f16 v57, v60, v4, 0
	v_pk_fma_f16 v4, v58, v4, 0
	v_pk_fma_f16 v57, v61, v5, v57
	v_pk_fma_f16 v4, v59, v5, v4
	v_pk_fma_f16 v57, v62, v6, v57
	v_pk_fma_f16 v4, v9, v6, v4
	v_pk_fma_f16 v57, v63, v7, v57
	v_pk_fma_f16 v4, v8, v7, v4
	v_cvt_f32_f16_e32 v72, v57
	v_cvt_f32_f16_e32 v5, v4
	v_cvt_f32_f16_sdwa v4, v4 dst_sel:DWORD dst_unused:UNUSED_PAD src0_sel:WORD_1
	v_cvt_f32_f16_sdwa v57, v57 dst_sel:DWORD dst_unused:UNUSED_PAD src0_sel:WORD_1
	v_add_f32_e32 v4, v5, v4
	v_add_f32_e32 v57, v72, v57
	v_fmac_f32_e32 v14, v4, v48
	v_mov_b32_e32 v4, s21
	s_add_i32 s21, s17, 0x738
	v_fmac_f32_e32 v15, v57, v45
	s_add_i32 s17, s17, 64
	s_cmp_ge_i32 s18, s19
	ds_read2_b32 v[6:7], v4 offset1:1
	s_waitcnt lgkmcnt(0)
	v_pk_fma_f16 v4, v71, v6, 0
	v_pk_fma_f16 v57, v70, v7, v4
	v_mov_b32_e32 v4, s21
	ds_read2_b32 v[4:5], v4 offset1:1
	s_waitcnt lgkmcnt(0)
	v_pk_fma_f16 v57, v68, v4, v57
	v_pk_fma_f16 v57, v69, v5, v57
	v_cvt_f32_f16_e32 v68, v57
	v_cvt_f32_f16_sdwa v57, v57 dst_sel:DWORD dst_unused:UNUSED_PAD src0_sel:WORD_1
	v_add_f32_e32 v57, v68, v57
	v_fmac_f32_e32 v12, v57, v47
	v_pk_fma_f16 v57, v64, v6, 0
	v_pk_fma_f16 v57, v65, v7, v57
	;; [unrolled: 1-line block ×4, first 2 shown]
	v_cvt_f32_f16_e32 v64, v57
	v_cvt_f32_f16_sdwa v57, v57 dst_sel:DWORD dst_unused:UNUSED_PAD src0_sel:WORD_1
	v_add_f32_e32 v57, v64, v57
	v_fmac_f32_e32 v11, v57, v46
	v_pk_fma_f16 v57, v60, v6, 0
	v_pk_fma_f16 v6, v58, v6, 0
	;; [unrolled: 1-line block ×8, first 2 shown]
	v_cvt_f32_f16_e32 v60, v57
	v_cvt_f32_f16_sdwa v57, v57 dst_sel:DWORD dst_unused:UNUSED_PAD src0_sel:WORD_1
	v_cvt_f32_f16_e32 v5, v4
	v_cvt_f32_f16_sdwa v4, v4 dst_sel:DWORD dst_unused:UNUSED_PAD src0_sel:WORD_1
	v_add_f32_e32 v57, v60, v57
	v_add_f32_e32 v4, v5, v4
	v_fmac_f32_e32 v10, v57, v45
	v_fmac_f32_e32 v13, v4, v48
	s_cbranch_scc1 .LBB45_24
.LBB45_22:                              ; =>This Inner Loop Header: Depth=1
	s_cmp_lg_u32 s18, s8
	s_cbranch_scc1 .LBB45_21
; %bb.23:                               ;   in Loop: Header=BB45_22 Depth=1
	s_add_i32 s16, s16, 1
	s_add_i32 s8, s8, s6
	s_mul_i32 s21, s16, s0
	s_ashr_i32 s22, s21, 31
	v_add_nc_u32_e32 v6, s21, v1
	s_lshr_b32 s22, s22, 29
	s_add_i32 s22, s21, s22
	v_ashrrev_i32_e32 v7, 31, v6
	s_ashr_i32 s22, s22, 3
	v_add_nc_u32_e32 v4, s22, v41
	v_lshlrev_b64 v[6:7], 1, v[6:7]
	v_ashrrev_i32_e32 v5, 31, v4
	v_lshlrev_b64 v[4:5], 2, v[4:5]
	v_add_co_u32 v4, vcc_lo, s10, v4
	v_add_co_ci_u32_e64 v5, null, s11, v5, vcc_lo
	v_add_co_u32 v6, vcc_lo, s12, v6
	v_add_co_ci_u32_e64 v7, null, s13, v7, vcc_lo
	global_load_dword v8, v[4:5], off
	global_load_dwordx2 v[4:5], v[6:7], off
	s_waitcnt vmcnt(1)
	v_lshrrev_b32_e32 v6, v43, v8
	s_waitcnt vmcnt(0)
	v_cvt_f32_f16_e32 v47, v4
	v_cvt_f32_f16_sdwa v46, v4 dst_sel:DWORD dst_unused:UNUSED_PAD src0_sel:WORD_1
	v_bfe_u32 v4, v8, v43, 4
	v_cvt_f32_f16_e32 v45, v5
	v_bfe_u32 v7, v6, 4, 4
	v_bfe_u32 v8, v6, 8, 4
	v_bfe_u32 v6, v6, 12, 4
	v_add_nc_u32_e32 v4, v4, v44
	v_cvt_f32_f16_sdwa v48, v5 dst_sel:DWORD dst_unused:UNUSED_PAD src0_sel:WORD_1
	v_add_nc_u32_e32 v5, v7, v44
	v_add_nc_u32_e32 v7, v8, v44
	;; [unrolled: 1-line block ×3, first 2 shown]
	v_cvt_f32_ubyte0_e32 v8, v4
	v_mad_u32_u24 v49, 0x10001, v4, s20
	v_cvt_f32_ubyte0_e32 v4, v5
	v_cvt_f32_ubyte0_e32 v9, v7
	;; [unrolled: 1-line block ×3, first 2 shown]
	v_cvt_f16_f32_e32 v8, v8
	v_mad_u32_u24 v52, 0x10001, v5, s20
	v_cvt_f16_f32_e32 v4, v4
	v_cvt_f16_f32_e32 v5, v9
	;; [unrolled: 1-line block ×3, first 2 shown]
	v_mad_u32_u24 v51, 0x10001, v7, s20
	v_sub_f16_e32 v7, 0xd400, v8
	v_sub_f16_e32 v4, 0xd400, v4
	;; [unrolled: 1-line block ×4, first 2 shown]
	v_mad_u32_u24 v50, 0x10001, v6, s20
	v_mul_u32_u24_sdwa v53, v7, v0 dst_sel:DWORD dst_unused:UNUSED_PAD src0_sel:WORD_0 src1_sel:DWORD
	v_mul_u32_u24_sdwa v56, v4, v0 dst_sel:DWORD dst_unused:UNUSED_PAD src0_sel:WORD_0 src1_sel:DWORD
	;; [unrolled: 1-line block ×4, first 2 shown]
	s_branch .LBB45_21
.LBB45_24:
	v_mad_u64_u32 v[0:1], null, s7, s0, v[1:2]
	v_cvt_f16_f32_e32 v3, v40
	v_cvt_f16_f32_e32 v5, v42
	s_mov_b32 s1, 0
	v_pack_b32_f16 v5, v3, v5
	v_ashrrev_i32_e32 v1, 31, v0
	v_lshlrev_b64 v[1:2], 1, v[0:1]
	v_add_co_u32 v1, vcc_lo, s14, v1
	v_add_co_ci_u32_e64 v2, null, s15, v2, vcc_lo
	global_load_dword v4, v[1:2], off
.LBB45_25:                              ; =>This Inner Loop Header: Depth=1
	s_waitcnt vmcnt(0)
	v_pk_add_f16 v3, v5, v4
	global_atomic_cmpswap v3, v[1:2], v[3:4], off glc
	s_waitcnt vmcnt(0)
	v_cmp_eq_u32_e32 vcc_lo, v4, v3
	v_mov_b32_e32 v4, v3
	s_or_b32 s1, vcc_lo, s1
	s_andn2_b32 exec_lo, exec_lo, s1
	s_cbranch_execnz .LBB45_25
; %bb.26:
	s_or_b32 exec_lo, exec_lo, s1
	global_load_dword v4, v[1:2], off offset:4
	v_cvt_f16_f32_e32 v3, v39
	v_cvt_f16_f32_e32 v5, v38
	s_mov_b32 s1, 0
	v_pack_b32_f16 v5, v3, v5
.LBB45_27:                              ; =>This Inner Loop Header: Depth=1
	s_waitcnt vmcnt(0)
	v_pk_add_f16 v3, v5, v4
	global_atomic_cmpswap v3, v[1:2], v[3:4], off offset:4 glc
	s_waitcnt vmcnt(0)
	v_cmp_eq_u32_e32 vcc_lo, v4, v3
	v_mov_b32_e32 v4, v3
	s_or_b32 s1, vcc_lo, s1
	s_andn2_b32 exec_lo, exec_lo, s1
	s_cbranch_execnz .LBB45_27
; %bb.28:
	s_or_b32 exec_lo, exec_lo, s1
	v_add_nc_u32_e32 v0, s0, v0
	v_cvt_f16_f32_e32 v3, v37
	v_cvt_f16_f32_e32 v5, v36
	s_mov_b32 s1, 0
	v_ashrrev_i32_e32 v1, 31, v0
	v_pack_b32_f16 v5, v3, v5
	v_lshlrev_b64 v[1:2], 1, v[0:1]
	v_add_co_u32 v1, vcc_lo, s14, v1
	v_add_co_ci_u32_e64 v2, null, s15, v2, vcc_lo
	global_load_dword v4, v[1:2], off
.LBB45_29:                              ; =>This Inner Loop Header: Depth=1
	s_waitcnt vmcnt(0)
	v_pk_add_f16 v3, v5, v4
	global_atomic_cmpswap v3, v[1:2], v[3:4], off glc
	s_waitcnt vmcnt(0)
	v_cmp_eq_u32_e32 vcc_lo, v4, v3
	v_mov_b32_e32 v4, v3
	s_or_b32 s1, vcc_lo, s1
	s_andn2_b32 exec_lo, exec_lo, s1
	s_cbranch_execnz .LBB45_29
; %bb.30:
	s_or_b32 exec_lo, exec_lo, s1
	global_load_dword v4, v[1:2], off offset:4
	v_cvt_f16_f32_e32 v3, v35
	v_cvt_f16_f32_e32 v5, v34
	s_mov_b32 s1, 0
	v_pack_b32_f16 v5, v3, v5
.LBB45_31:                              ; =>This Inner Loop Header: Depth=1
	s_waitcnt vmcnt(0)
	v_pk_add_f16 v3, v5, v4
	global_atomic_cmpswap v3, v[1:2], v[3:4], off offset:4 glc
	s_waitcnt vmcnt(0)
	v_cmp_eq_u32_e32 vcc_lo, v4, v3
	v_mov_b32_e32 v4, v3
	s_or_b32 s1, vcc_lo, s1
	s_andn2_b32 exec_lo, exec_lo, s1
	s_cbranch_execnz .LBB45_31
; %bb.32:
	s_or_b32 exec_lo, exec_lo, s1
	v_add_nc_u32_e32 v0, s0, v0
	v_cvt_f16_f32_e32 v3, v33
	v_cvt_f16_f32_e32 v5, v32
	s_mov_b32 s1, 0
	v_ashrrev_i32_e32 v1, 31, v0
	v_pack_b32_f16 v5, v3, v5
	;; [unrolled: 39-line block ×7, first 2 shown]
	v_lshlrev_b64 v[0:1], 1, v[0:1]
	v_add_co_u32 v0, vcc_lo, s14, v0
	v_add_co_ci_u32_e64 v1, null, s15, v1, vcc_lo
	global_load_dword v3, v[0:1], off
.LBB45_53:                              ; =>This Inner Loop Header: Depth=1
	s_waitcnt vmcnt(0)
	v_pk_add_f16 v2, v4, v3
	global_atomic_cmpswap v2, v[0:1], v[2:3], off glc
	s_waitcnt vmcnt(0)
	v_cmp_eq_u32_e32 vcc_lo, v3, v2
	v_mov_b32_e32 v3, v2
	s_or_b32 s0, vcc_lo, s0
	s_andn2_b32 exec_lo, exec_lo, s0
	s_cbranch_execnz .LBB45_53
; %bb.54:
	s_or_b32 exec_lo, exec_lo, s0
	global_load_dword v3, v[0:1], off offset:4
	v_cvt_f16_f32_e32 v2, v10
	v_cvt_f16_f32_e32 v4, v13
	s_mov_b32 s0, 0
	v_pack_b32_f16 v4, v2, v4
.LBB45_55:                              ; =>This Inner Loop Header: Depth=1
	s_waitcnt vmcnt(0)
	v_pk_add_f16 v2, v4, v3
	global_atomic_cmpswap v2, v[0:1], v[2:3], off offset:4 glc
	s_waitcnt vmcnt(0)
	v_cmp_eq_u32_e32 vcc_lo, v3, v2
	v_mov_b32_e32 v3, v2
	s_or_b32 s0, vcc_lo, s0
	s_andn2_b32 exec_lo, exec_lo, s0
	s_cbranch_execnz .LBB45_55
.LBB45_56:
	s_endpgm
	.section	.rodata,"a",@progbits
	.p2align	6, 0x0
	.amdhsa_kernel _ZN4vllm4gptq33gemm_half_q_half_gptq_4bit_kernelILb1ELi8EEEvPK6__halfPKjS6_S4_PS2_iiiibPKi
		.amdhsa_group_segment_fixed_size 2048
		.amdhsa_private_segment_fixed_size 0
		.amdhsa_kernarg_size 72
		.amdhsa_user_sgpr_count 6
		.amdhsa_user_sgpr_private_segment_buffer 1
		.amdhsa_user_sgpr_dispatch_ptr 0
		.amdhsa_user_sgpr_queue_ptr 0
		.amdhsa_user_sgpr_kernarg_segment_ptr 1
		.amdhsa_user_sgpr_dispatch_id 0
		.amdhsa_user_sgpr_flat_scratch_init 0
		.amdhsa_user_sgpr_private_segment_size 0
		.amdhsa_wavefront_size32 1
		.amdhsa_uses_dynamic_stack 0
		.amdhsa_system_sgpr_private_segment_wavefront_offset 0
		.amdhsa_system_sgpr_workgroup_id_x 1
		.amdhsa_system_sgpr_workgroup_id_y 1
		.amdhsa_system_sgpr_workgroup_id_z 1
		.amdhsa_system_sgpr_workgroup_info 0
		.amdhsa_system_vgpr_workitem_id 0
		.amdhsa_next_free_vgpr 76
		.amdhsa_next_free_sgpr 24
		.amdhsa_reserve_vcc 1
		.amdhsa_reserve_flat_scratch 0
		.amdhsa_float_round_mode_32 0
		.amdhsa_float_round_mode_16_64 0
		.amdhsa_float_denorm_mode_32 3
		.amdhsa_float_denorm_mode_16_64 3
		.amdhsa_dx10_clamp 1
		.amdhsa_ieee_mode 1
		.amdhsa_fp16_overflow 0
		.amdhsa_workgroup_processor_mode 1
		.amdhsa_memory_ordered 1
		.amdhsa_forward_progress 1
		.amdhsa_shared_vgpr_count 0
		.amdhsa_exception_fp_ieee_invalid_op 0
		.amdhsa_exception_fp_denorm_src 0
		.amdhsa_exception_fp_ieee_div_zero 0
		.amdhsa_exception_fp_ieee_overflow 0
		.amdhsa_exception_fp_ieee_underflow 0
		.amdhsa_exception_fp_ieee_inexact 0
		.amdhsa_exception_int_div_zero 0
	.end_amdhsa_kernel
	.section	.text._ZN4vllm4gptq33gemm_half_q_half_gptq_4bit_kernelILb1ELi8EEEvPK6__halfPKjS6_S4_PS2_iiiibPKi,"axG",@progbits,_ZN4vllm4gptq33gemm_half_q_half_gptq_4bit_kernelILb1ELi8EEEvPK6__halfPKjS6_S4_PS2_iiiibPKi,comdat
.Lfunc_end45:
	.size	_ZN4vllm4gptq33gemm_half_q_half_gptq_4bit_kernelILb1ELi8EEEvPK6__halfPKjS6_S4_PS2_iiiibPKi, .Lfunc_end45-_ZN4vllm4gptq33gemm_half_q_half_gptq_4bit_kernelILb1ELi8EEEvPK6__halfPKjS6_S4_PS2_iiiibPKi
                                        ; -- End function
	.set _ZN4vllm4gptq33gemm_half_q_half_gptq_4bit_kernelILb1ELi8EEEvPK6__halfPKjS6_S4_PS2_iiiibPKi.num_vgpr, 76
	.set _ZN4vllm4gptq33gemm_half_q_half_gptq_4bit_kernelILb1ELi8EEEvPK6__halfPKjS6_S4_PS2_iiiibPKi.num_agpr, 0
	.set _ZN4vllm4gptq33gemm_half_q_half_gptq_4bit_kernelILb1ELi8EEEvPK6__halfPKjS6_S4_PS2_iiiibPKi.numbered_sgpr, 24
	.set _ZN4vllm4gptq33gemm_half_q_half_gptq_4bit_kernelILb1ELi8EEEvPK6__halfPKjS6_S4_PS2_iiiibPKi.num_named_barrier, 0
	.set _ZN4vllm4gptq33gemm_half_q_half_gptq_4bit_kernelILb1ELi8EEEvPK6__halfPKjS6_S4_PS2_iiiibPKi.private_seg_size, 0
	.set _ZN4vllm4gptq33gemm_half_q_half_gptq_4bit_kernelILb1ELi8EEEvPK6__halfPKjS6_S4_PS2_iiiibPKi.uses_vcc, 1
	.set _ZN4vllm4gptq33gemm_half_q_half_gptq_4bit_kernelILb1ELi8EEEvPK6__halfPKjS6_S4_PS2_iiiibPKi.uses_flat_scratch, 0
	.set _ZN4vllm4gptq33gemm_half_q_half_gptq_4bit_kernelILb1ELi8EEEvPK6__halfPKjS6_S4_PS2_iiiibPKi.has_dyn_sized_stack, 0
	.set _ZN4vllm4gptq33gemm_half_q_half_gptq_4bit_kernelILb1ELi8EEEvPK6__halfPKjS6_S4_PS2_iiiibPKi.has_recursion, 0
	.set _ZN4vllm4gptq33gemm_half_q_half_gptq_4bit_kernelILb1ELi8EEEvPK6__halfPKjS6_S4_PS2_iiiibPKi.has_indirect_call, 0
	.section	.AMDGPU.csdata,"",@progbits
; Kernel info:
; codeLenInByte = 13132
; TotalNumSgprs: 26
; NumVgprs: 76
; ScratchSize: 0
; MemoryBound: 0
; FloatMode: 240
; IeeeMode: 1
; LDSByteSize: 2048 bytes/workgroup (compile time only)
; SGPRBlocks: 0
; VGPRBlocks: 9
; NumSGPRsForWavesPerEU: 26
; NumVGPRsForWavesPerEU: 76
; Occupancy: 12
; WaveLimiterHint : 0
; COMPUTE_PGM_RSRC2:SCRATCH_EN: 0
; COMPUTE_PGM_RSRC2:USER_SGPR: 6
; COMPUTE_PGM_RSRC2:TRAP_HANDLER: 0
; COMPUTE_PGM_RSRC2:TGID_X_EN: 1
; COMPUTE_PGM_RSRC2:TGID_Y_EN: 1
; COMPUTE_PGM_RSRC2:TGID_Z_EN: 1
; COMPUTE_PGM_RSRC2:TIDIG_COMP_CNT: 0
	.section	.text._ZN4vllm4gptq33gemm_half_q_half_gptq_8bit_kernelILb1ELi8EEEvPK6__halfPKjS6_S4_PS2_iiiibPKi,"axG",@progbits,_ZN4vllm4gptq33gemm_half_q_half_gptq_8bit_kernelILb1ELi8EEEvPK6__halfPKjS6_S4_PS2_iiiibPKi,comdat
	.protected	_ZN4vllm4gptq33gemm_half_q_half_gptq_8bit_kernelILb1ELi8EEEvPK6__halfPKjS6_S4_PS2_iiiibPKi ; -- Begin function _ZN4vllm4gptq33gemm_half_q_half_gptq_8bit_kernelILb1ELi8EEEvPK6__halfPKjS6_S4_PS2_iiiibPKi
	.globl	_ZN4vllm4gptq33gemm_half_q_half_gptq_8bit_kernelILb1ELi8EEEvPK6__halfPKjS6_S4_PS2_iiiibPKi
	.p2align	8
	.type	_ZN4vllm4gptq33gemm_half_q_half_gptq_8bit_kernelILb1ELi8EEEvPK6__halfPKjS6_S4_PS2_iiiibPKi,@function
_ZN4vllm4gptq33gemm_half_q_half_gptq_8bit_kernelILb1ELi8EEEvPK6__halfPKjS6_S4_PS2_iiiibPKi: ; @_ZN4vllm4gptq33gemm_half_q_half_gptq_8bit_kernelILb1ELi8EEEvPK6__halfPKjS6_S4_PS2_iiiibPKi
; %bb.0:
	s_load_dwordx4 s[0:3], s[4:5], 0x2c
	s_lshl_b32 s18, s8, 7
	s_lshl_b32 s7, s7, 3
	s_add_i32 s8, s18, 0x80
	s_mov_b32 s20, exec_lo
	v_cvt_f64_u32_e32 v[1:2], s8
	s_load_dwordx8 s[8:15], s[4:5], 0x8
	s_waitcnt lgkmcnt(0)
	v_cvt_f64_i32_e32 v[3:4], s1
	v_min_f64 v[1:2], v[1:2], v[3:4]
	v_cvt_i32_f64_e32 v2, v[1:2]
	v_add_nc_u32_e32 v1, s18, v0
	v_readfirstlane_b32 s19, v2
	v_cmpx_lt_u32_e64 v1, v2
	s_cbranch_execz .LBB46_18
; %bb.1:
	s_clause 0x1
	s_load_dwordx2 s[16:17], s[4:5], 0x40
	s_load_dwordx2 s[4:5], s[4:5], 0x0
	v_mov_b32_e32 v2, 0
	v_lshlrev_b64 v[3:4], 2, v[1:2]
	v_mov_b32_e32 v6, v2
	v_mov_b32_e32 v5, v1
	s_waitcnt lgkmcnt(0)
	v_add_co_u32 v3, vcc_lo, s16, v3
	v_add_co_ci_u32_e64 v4, null, s17, v4, vcc_lo
	s_cmp_lg_u64 s[16:17], 0
	s_cselect_b32 s21, -1, 0
	s_cmp_eq_u64 s[16:17], 0
	s_cbranch_scc1 .LBB46_3
; %bb.2:
	global_load_dword v5, v[3:4], off
	s_waitcnt vmcnt(0)
	v_ashrrev_i32_e32 v6, 31, v5
.LBB46_3:
	s_mul_i32 s16, s7, s1
	v_lshlrev_b64 v[5:6], 1, v[5:6]
	s_ashr_i32 s17, s16, 31
	v_cndmask_b32_e64 v8, 0, 1, s21
	s_lshl_b64 s[22:23], s[16:17], 1
	v_lshlrev_b32_e32 v7, 1, v0
	s_add_u32 s17, s4, s22
	s_addc_u32 s22, s5, s23
	v_add_co_u32 v5, vcc_lo, s17, v5
	v_add_co_ci_u32_e64 v6, null, s22, v6, vcc_lo
	s_andn2_b32 vcc_lo, exec_lo, s21
	global_load_ushort v9, v[5:6], off
	v_mov_b32_e32 v6, v2
	v_mov_b32_e32 v5, v1
	s_waitcnt vmcnt(0)
	ds_write_b16 v7, v9
	s_cbranch_vccnz .LBB46_5
; %bb.4:
	global_load_dword v5, v[3:4], off
	s_waitcnt vmcnt(0)
	v_ashrrev_i32_e32 v6, 31, v5
.LBB46_5:
	s_add_i32 s16, s16, s1
	v_lshlrev_b64 v[5:6], 1, v[5:6]
	s_ashr_i32 s17, s16, 31
	s_lshl_b64 s[22:23], s[16:17], 1
	s_add_u32 s17, s4, s22
	s_addc_u32 s21, s5, s23
	v_add_co_u32 v5, vcc_lo, s17, v5
	v_add_co_ci_u32_e64 v6, null, s21, v6, vcc_lo
	v_cmp_ne_u32_e32 vcc_lo, 1, v8
	global_load_ushort v9, v[5:6], off
	v_mov_b32_e32 v6, v2
	v_mov_b32_e32 v5, v1
	s_waitcnt vmcnt(0)
	ds_write_b16 v7, v9 offset:256
	s_cbranch_vccnz .LBB46_7
; %bb.6:
	global_load_dword v5, v[3:4], off
	s_waitcnt vmcnt(0)
	v_ashrrev_i32_e32 v6, 31, v5
.LBB46_7:
	s_add_i32 s16, s16, s1
	v_lshlrev_b64 v[5:6], 1, v[5:6]
	s_ashr_i32 s17, s16, 31
	s_lshl_b64 s[22:23], s[16:17], 1
	s_add_u32 s17, s4, s22
	s_addc_u32 s21, s5, s23
	v_add_co_u32 v5, vcc_lo, s17, v5
	v_add_co_ci_u32_e64 v6, null, s21, v6, vcc_lo
	v_cmp_ne_u32_e32 vcc_lo, 1, v8
	global_load_ushort v9, v[5:6], off
	v_mov_b32_e32 v6, v2
	v_mov_b32_e32 v5, v1
	s_waitcnt vmcnt(0)
	ds_write_b16 v7, v9 offset:512
	;; [unrolled: 20-line block ×5, first 2 shown]
	s_cbranch_vccnz .LBB46_15
; %bb.14:
	global_load_dword v5, v[3:4], off
	s_waitcnt vmcnt(0)
	v_ashrrev_i32_e32 v6, 31, v5
.LBB46_15:
	s_add_i32 s16, s16, s1
	v_lshlrev_b64 v[5:6], 1, v[5:6]
	s_ashr_i32 s17, s16, 31
	s_lshl_b64 s[22:23], s[16:17], 1
	s_add_u32 s17, s4, s22
	s_addc_u32 s21, s5, s23
	v_add_co_u32 v5, vcc_lo, s17, v5
	v_add_co_ci_u32_e64 v6, null, s21, v6, vcc_lo
	v_cmp_ne_u32_e32 vcc_lo, 1, v8
	global_load_ushort v5, v[5:6], off
	s_waitcnt vmcnt(0)
	ds_write_b16 v7, v5 offset:1536
	s_cbranch_vccnz .LBB46_17
; %bb.16:
	global_load_dword v1, v[3:4], off
	s_waitcnt vmcnt(0)
	v_ashrrev_i32_e32 v2, 31, v1
.LBB46_17:
	s_add_i32 s16, s16, s1
	v_lshlrev_b64 v[1:2], 1, v[1:2]
	s_ashr_i32 s17, s16, 31
	s_lshl_b64 s[16:17], s[16:17], 1
	s_add_u32 s4, s4, s16
	s_addc_u32 s5, s5, s17
	v_add_co_u32 v1, vcc_lo, s4, v1
	v_add_co_ci_u32_e64 v2, null, s5, v2, vcc_lo
	global_load_ushort v1, v[1:2], off
	s_waitcnt vmcnt(0)
	ds_write_b16 v7, v1 offset:1792
.LBB46_18:
	s_or_b32 exec_lo, exec_lo, s20
	v_lshlrev_b32_e32 v0, 2, v0
	s_mov_b32 s4, exec_lo
	v_lshl_add_u32 v16, s6, 9, v0
	v_cmpx_gt_i32_e64 s0, v16
	s_cbranch_execz .LBB46_56
; %bb.19:
	s_abs_i32 s5, s2
	v_mov_b32_e32 v15, 0
	v_cvt_f32_u32_e32 v0, s5
	v_mov_b32_e32 v14, 0
	v_mov_b32_e32 v21, 0
	;; [unrolled: 1-line block ×4, first 2 shown]
	v_rcp_iflag_f32_e32 v0, v0
	v_mov_b32_e32 v32, 0
	v_mov_b32_e32 v43, 0
	;; [unrolled: 1-line block ×9, first 2 shown]
	v_mul_f32_e32 v0, 0x4f7ffffe, v0
	v_mov_b32_e32 v34, 0
	v_mov_b32_e32 v36, 0
	s_cmp_ge_i32 s18, s19
	s_mov_b32 s4, 0
	v_cvt_u32_f32_e32 v0, v0
	s_waitcnt lgkmcnt(0)
	s_barrier
	buffer_gl0_inv
	v_readfirstlane_b32 s6, v0
	s_cbranch_scc1 .LBB46_24
; %bb.20:
	s_sub_i32 s16, 0, s5
	s_abs_i32 s17, s1
	s_mul_i32 s16, s16, s6
	s_ashr_i32 s1, s1, 31
	s_mul_hi_u32 s16, s6, s16
	s_ashr_i32 s2, s2, 31
	s_add_i32 s6, s6, s16
	s_xor_b32 s1, s1, s2
	s_mul_hi_u32 s6, s17, s6
	v_ashrrev_i32_e32 v22, 2, v16
	s_mul_i32 s16, s6, s5
	v_ashrrev_i32_e32 v17, 31, v16
	s_sub_i32 s2, s17, s16
	s_add_i32 s16, s6, 1
	s_sub_i32 s17, s2, s5
	s_cmp_ge_u32 s2, s5
	v_mov_b32_e32 v36, 0
	s_cselect_b32 s6, s16, s6
	s_cselect_b32 s2, s17, s2
	s_add_i32 s16, s6, 1
	s_cmp_ge_u32 s2, s5
	v_mov_b32_e32 v34, 0
	s_cselect_b32 s2, s16, s6
	v_mov_b32_e32 v65, 0
	s_xor_b32 s2, s2, s1
	v_mov_b32_e32 v66, 0
	s_sub_i32 s5, s2, s1
	s_bitcmp1_b32 s3, 0
	v_cvt_f32_u32_e32 v0, s5
	s_cselect_b32 s2, -1, 0
	s_sub_i32 s3, 0, s5
	s_xor_b32 s16, s2, -1
	v_mov_b32_e32 v63, 0
	v_rcp_iflag_f32_e32 v0, v0
	v_mov_b32_e32 v64, 0
	v_mov_b32_e32 v61, 0
	;; [unrolled: 1-line block ×9, first 2 shown]
	v_mul_f32_e32 v0, 0x4f7ffffe, v0
	v_mov_b32_e32 v14, 0
	v_mov_b32_e32 v15, 0
	v_cvt_u32_f32_e32 v0, v0
	v_readfirstlane_b32 s1, v0
	s_mul_i32 s3, s3, s1
	s_mul_hi_u32 s3, s1, s3
	s_add_i32 s1, s1, s3
	s_mul_hi_u32 s1, s18, s1
	s_mul_i32 s3, s1, s5
	s_sub_i32 s2, s18, s3
	s_add_i32 s3, s1, 1
	s_sub_i32 s6, s2, s5
	s_cmp_ge_u32 s2, s5
	s_cselect_b32 s1, s3, s1
	s_cselect_b32 s2, s6, s2
	s_add_i32 s3, s1, 1
	s_cmp_ge_u32 s2, s5
	s_cselect_b32 s6, s3, s1
	s_mul_i32 s1, s6, s0
	s_ashr_i32 s2, s1, 31
	v_add_nc_u32_e32 v2, s1, v16
	s_lshr_b32 s2, s2, 30
	s_add_i32 s2, s1, s2
	s_lshr_b32 s1, s18, 2
	s_ashr_i32 s2, s2, 2
	v_ashrrev_i32_e32 v3, 31, v2
	v_add_nc_u32_e32 v0, s2, v22
	s_mul_i32 s2, s0, s1
	s_ashr_i32 s3, s2, 31
	v_lshlrev_b64 v[2:3], 1, v[2:3]
	v_ashrrev_i32_e32 v1, 31, v0
	s_lshl_b64 s[2:3], s[2:3], 2
	s_add_u32 s1, s8, s2
	s_addc_u32 s2, s9, s3
	v_lshlrev_b64 v[0:1], 2, v[0:1]
	s_add_i32 s8, s5, s18
	v_add_co_u32 v0, vcc_lo, s10, v0
	v_add_co_ci_u32_e64 v1, null, s11, v1, vcc_lo
	global_load_dword v4, v[0:1], off
	v_add_co_u32 v0, vcc_lo, s12, v2
	v_add_co_ci_u32_e64 v1, null, s13, v3, vcc_lo
	global_load_dwordx2 v[18:19], v[0:1], off
	v_lshlrev_b64 v[0:1], 2, v[16:17]
	v_cndmask_b32_e64 v17, 0, 1, s16
	v_add_co_u32 v0, vcc_lo, s1, v0
	v_add_co_ci_u32_e64 v1, null, s2, v1, vcc_lo
	s_ashr_i32 s1, s0, 31
	s_lshl_b64 s[2:3], s[0:1], 2
	s_waitcnt vmcnt(1)
	v_and_b32_e32 v23, 0xff, v4
	v_bfe_u32 v24, v4, 8, 8
	v_bfe_u32 v25, v4, 16, 8
	v_lshrrev_b32_e32 v26, 24, v4
	s_branch .LBB46_22
.LBB46_21:                              ;   in Loop: Header=BB46_22 Depth=1
	global_load_dwordx4 v[4:7], v[0:1], off
	v_add_co_u32 v12, vcc_lo, v0, s2
	v_add_co_ci_u32_e64 v13, null, s3, v1, vcc_lo
	v_add_nc_u32_e32 v31, v23, v17
	v_add_nc_u32_e32 v30, v24, v17
	;; [unrolled: 1-line block ×3, first 2 shown]
	global_load_dwordx4 v[0:3], v[12:13], off
	v_add_nc_u32_e32 v28, v26, v17
	v_mov_b32_e32 v27, s4
	v_add_co_u32 v12, vcc_lo, v12, s2
	v_add_co_ci_u32_e64 v13, null, s3, v13, vcc_lo
	s_add_i32 s18, s18, 32
	s_add_i32 s4, s4, 64
	s_cmp_ge_i32 s18, s19
	s_waitcnt vmcnt(1)
	v_sub_nc_u32_sdwa v8, v4, v31 dst_sel:DWORD dst_unused:UNUSED_PAD src0_sel:BYTE_0 src1_sel:DWORD
	v_cvt_f32_i32_e32 v8, v8
	v_cvt_f16_f32_e32 v37, v8
	v_sub_nc_u32_sdwa v8, v4, v31 dst_sel:DWORD dst_unused:UNUSED_PAD src0_sel:BYTE_1 src1_sel:DWORD
	v_cvt_f32_i32_e32 v8, v8
	v_cvt_f16_f32_e32 v38, v8
	v_sub_nc_u32_sdwa v8, v4, v31 dst_sel:DWORD dst_unused:UNUSED_PAD src0_sel:BYTE_2 src1_sel:DWORD
	v_sub_nc_u32_sdwa v4, v4, v31 dst_sel:DWORD dst_unused:UNUSED_PAD src0_sel:BYTE_3 src1_sel:DWORD
	v_cvt_f32_i32_e32 v8, v8
	v_cvt_f32_i32_e32 v4, v4
	v_cvt_f16_f32_e32 v39, v8
	v_cvt_f16_f32_e32 v40, v4
	s_waitcnt vmcnt(0)
	v_sub_nc_u32_sdwa v4, v0, v31 dst_sel:DWORD dst_unused:UNUSED_PAD src0_sel:BYTE_0 src1_sel:DWORD
	v_cvt_f32_i32_e32 v4, v4
	v_cvt_f16_f32_e32 v41, v4
	v_sub_nc_u32_sdwa v4, v0, v31 dst_sel:DWORD dst_unused:UNUSED_PAD src0_sel:BYTE_1 src1_sel:DWORD
	v_cvt_f32_i32_e32 v4, v4
	v_cvt_f16_f32_e32 v42, v4
	v_sub_nc_u32_sdwa v4, v0, v31 dst_sel:DWORD dst_unused:UNUSED_PAD src0_sel:BYTE_2 src1_sel:DWORD
	v_sub_nc_u32_sdwa v0, v0, v31 dst_sel:DWORD dst_unused:UNUSED_PAD src0_sel:BYTE_3 src1_sel:DWORD
	v_cvt_f32_i32_e32 v4, v4
	v_cvt_f32_i32_e32 v0, v0
	v_cvt_f16_f32_e32 v44, v4
	v_cvt_f16_f32_e32 v45, v0
	v_sub_nc_u32_sdwa v0, v5, v30 dst_sel:DWORD dst_unused:UNUSED_PAD src0_sel:BYTE_0 src1_sel:DWORD
	v_cvt_f32_i32_e32 v0, v0
	v_cvt_f16_f32_e32 v46, v0
	v_sub_nc_u32_sdwa v0, v5, v30 dst_sel:DWORD dst_unused:UNUSED_PAD src0_sel:BYTE_1 src1_sel:DWORD
	v_cvt_f32_i32_e32 v0, v0
	v_cvt_f16_f32_e32 v47, v0
	v_sub_nc_u32_sdwa v0, v5, v30 dst_sel:DWORD dst_unused:UNUSED_PAD src0_sel:BYTE_2 src1_sel:DWORD
	v_cvt_f32_i32_e32 v0, v0
	v_cvt_f16_f32_e32 v48, v0
	v_sub_nc_u32_sdwa v0, v5, v30 dst_sel:DWORD dst_unused:UNUSED_PAD src0_sel:BYTE_3 src1_sel:DWORD
	v_cvt_f32_i32_e32 v0, v0
	v_cvt_f16_f32_e32 v49, v0
	v_sub_nc_u32_sdwa v0, v1, v30 dst_sel:DWORD dst_unused:UNUSED_PAD src0_sel:BYTE_0 src1_sel:DWORD
	v_cvt_f32_i32_e32 v0, v0
	v_cvt_f16_f32_e32 v50, v0
	v_sub_nc_u32_sdwa v0, v1, v30 dst_sel:DWORD dst_unused:UNUSED_PAD src0_sel:BYTE_1 src1_sel:DWORD
	v_cvt_f32_i32_e32 v0, v0
	v_cvt_f16_f32_e32 v51, v0
	v_sub_nc_u32_sdwa v0, v1, v30 dst_sel:DWORD dst_unused:UNUSED_PAD src0_sel:BYTE_2 src1_sel:DWORD
	v_cvt_f32_i32_e32 v0, v0
	v_cvt_f16_f32_e32 v52, v0
	v_sub_nc_u32_sdwa v0, v1, v30 dst_sel:DWORD dst_unused:UNUSED_PAD src0_sel:BYTE_3 src1_sel:DWORD
	v_cvt_f32_i32_e32 v0, v0
	;; [unrolled: 12-line block ×6, first 2 shown]
	v_cvt_f16_f32_e32 v102, v0
	ds_read_b128 v[68:71], v27
	ds_read_b128 v[8:11], v27 offset:16
	ds_read_b128 v[4:7], v27 offset:32
	;; [unrolled: 1-line block ×4, first 2 shown]
	s_waitcnt lgkmcnt(4)
	v_fma_mix_f32 v72, v37, v68, 0 op_sel_hi:[1,1,0]
	v_fma_mix_f32 v72, v38, v68, v72 op_sel:[0,1,0] op_sel_hi:[1,1,0]
	v_fma_mix_f32 v72, v39, v69, v72 op_sel_hi:[1,1,0]
	v_fma_mix_f32 v72, v40, v69, v72 op_sel:[0,1,0] op_sel_hi:[1,1,0]
	;; [unrolled: 2-line block ×4, first 2 shown]
	v_fma_mixlo_f16 v72, v72, v18, 0 op_sel_hi:[0,1,0]
	v_add_f16_e32 v99, v15, v72
	v_fma_mix_f32 v72, v46, v68, 0 op_sel_hi:[1,1,0]
	v_fma_mix_f32 v72, v47, v68, v72 op_sel:[0,1,0] op_sel_hi:[1,1,0]
	v_fma_mix_f32 v72, v48, v69, v72 op_sel_hi:[1,1,0]
	v_fma_mix_f32 v72, v49, v69, v72 op_sel:[0,1,0] op_sel_hi:[1,1,0]
	;; [unrolled: 2-line block ×4, first 2 shown]
	v_fma_mixlo_f16 v72, v72, v18, 0 op_sel:[0,1,0] op_sel_hi:[0,1,0]
	v_add_f16_sdwa v100, v15, v72 dst_sel:DWORD dst_unused:UNUSED_PAD src0_sel:WORD_1 src1_sel:DWORD
	v_fma_mix_f32 v15, v54, v68, 0 op_sel_hi:[1,1,0]
	v_fma_mix_f32 v15, v55, v68, v15 op_sel:[0,1,0] op_sel_hi:[1,1,0]
	v_fma_mix_f32 v15, v56, v69, v15 op_sel_hi:[1,1,0]
	v_fma_mix_f32 v15, v57, v69, v15 op_sel:[0,1,0] op_sel_hi:[1,1,0]
	;; [unrolled: 2-line block ×4, first 2 shown]
	v_fma_mixlo_f16 v15, v15, v19, 0 op_sel_hi:[0,1,0]
	v_add_f16_e32 v101, v14, v15
	v_fma_mix_f32 v15, v92, v68, 0 op_sel_hi:[1,1,0]
	v_fma_mix_f32 v15, v93, v68, v15 op_sel:[0,1,0] op_sel_hi:[1,1,0]
	v_fma_mix_f32 v15, v94, v69, v15 op_sel_hi:[1,1,0]
	v_fma_mix_f32 v15, v95, v69, v15 op_sel:[0,1,0] op_sel_hi:[1,1,0]
	;; [unrolled: 2-line block ×4, first 2 shown]
	ds_read_b128 v[71:74], v27 offset:256
	v_fma_mixlo_f16 v15, v15, v19, 0 op_sel:[0,1,0] op_sel_hi:[0,1,0]
	v_add_f16_sdwa v103, v14, v15 dst_sel:DWORD dst_unused:UNUSED_PAD src0_sel:WORD_1 src1_sel:DWORD
	s_waitcnt lgkmcnt(0)
	v_fma_mix_f32 v14, v37, v71, 0 op_sel_hi:[1,1,0]
	v_fma_mix_f32 v14, v38, v71, v14 op_sel:[0,1,0] op_sel_hi:[1,1,0]
	v_fma_mix_f32 v14, v39, v72, v14 op_sel_hi:[1,1,0]
	v_fma_mix_f32 v14, v40, v72, v14 op_sel:[0,1,0] op_sel_hi:[1,1,0]
	v_fma_mix_f32 v14, v41, v73, v14 op_sel_hi:[1,1,0]
	v_fma_mix_f32 v14, v42, v73, v14 op_sel:[0,1,0] op_sel_hi:[1,1,0]
	v_fma_mix_f32 v14, v44, v74, v14 op_sel_hi:[1,1,0]
	v_fma_mix_f32 v14, v45, v74, v14 op_sel:[0,1,0] op_sel_hi:[1,1,0]
	v_fma_mixlo_f16 v14, v14, v18, 0 op_sel_hi:[0,1,0]
	v_add_f16_e32 v68, v21, v14
	v_fma_mix_f32 v14, v46, v71, 0 op_sel_hi:[1,1,0]
	v_fma_mix_f32 v14, v47, v71, v14 op_sel:[0,1,0] op_sel_hi:[1,1,0]
	v_fma_mix_f32 v14, v48, v72, v14 op_sel_hi:[1,1,0]
	v_fma_mix_f32 v14, v49, v72, v14 op_sel:[0,1,0] op_sel_hi:[1,1,0]
	v_fma_mix_f32 v14, v50, v73, v14 op_sel_hi:[1,1,0]
	v_fma_mix_f32 v14, v51, v73, v14 op_sel:[0,1,0] op_sel_hi:[1,1,0]
	v_fma_mix_f32 v14, v52, v74, v14 op_sel_hi:[1,1,0]
	v_fma_mix_f32 v14, v53, v74, v14 op_sel:[0,1,0] op_sel_hi:[1,1,0]
	v_fma_mixlo_f16 v14, v14, v18, 0 op_sel:[0,1,0] op_sel_hi:[0,1,0]
	v_add_f16_sdwa v69, v21, v14 dst_sel:DWORD dst_unused:UNUSED_PAD src0_sel:WORD_1 src1_sel:DWORD
	v_fma_mix_f32 v14, v54, v71, 0 op_sel_hi:[1,1,0]
	v_fma_mix_f32 v14, v55, v71, v14 op_sel:[0,1,0] op_sel_hi:[1,1,0]
	v_fma_mix_f32 v14, v56, v72, v14 op_sel_hi:[1,1,0]
	v_fma_mix_f32 v14, v57, v72, v14 op_sel:[0,1,0] op_sel_hi:[1,1,0]
	v_fma_mix_f32 v14, v58, v73, v14 op_sel_hi:[1,1,0]
	v_fma_mix_f32 v14, v59, v73, v14 op_sel:[0,1,0] op_sel_hi:[1,1,0]
	v_fma_mix_f32 v14, v60, v74, v14 op_sel_hi:[1,1,0]
	v_fma_mix_f32 v14, v67, v74, v14 op_sel:[0,1,0] op_sel_hi:[1,1,0]
	v_fma_mixlo_f16 v14, v14, v19, 0 op_sel_hi:[0,1,0]
	v_add_f16_e32 v70, v20, v14
	v_fma_mix_f32 v14, v92, v71, 0 op_sel_hi:[1,1,0]
	v_fma_mix_f32 v14, v93, v71, v14 op_sel:[0,1,0] op_sel_hi:[1,1,0]
	v_fma_mix_f32 v14, v94, v72, v14 op_sel_hi:[1,1,0]
	v_fma_mix_f32 v14, v95, v72, v14 op_sel:[0,1,0] op_sel_hi:[1,1,0]
	v_fma_mix_f32 v14, v96, v73, v14 op_sel_hi:[1,1,0]
	v_fma_mix_f32 v14, v97, v73, v14 op_sel:[0,1,0] op_sel_hi:[1,1,0]
	v_fma_mix_f32 v14, v98, v74, v14 op_sel_hi:[1,1,0]
	v_fma_mix_f32 v14, v102, v74, v14 op_sel:[0,1,0] op_sel_hi:[1,1,0]
	v_fma_mixlo_f16 v14, v14, v19, 0 op_sel:[0,1,0] op_sel_hi:[0,1,0]
	v_add_f16_sdwa v71, v20, v14 dst_sel:DWORD dst_unused:UNUSED_PAD src0_sel:WORD_1 src1_sel:DWORD
	;; [unrolled: 20-line block ×3, first 2 shown]
	v_fma_mix_f32 v14, v54, v75, 0 op_sel_hi:[1,1,0]
	v_fma_mix_f32 v14, v55, v75, v14 op_sel:[0,1,0] op_sel_hi:[1,1,0]
	v_fma_mix_f32 v14, v56, v76, v14 op_sel_hi:[1,1,0]
	v_fma_mix_f32 v14, v57, v76, v14 op_sel:[0,1,0] op_sel_hi:[1,1,0]
	v_fma_mix_f32 v14, v58, v77, v14 op_sel_hi:[1,1,0]
	v_fma_mix_f32 v14, v59, v77, v14 op_sel:[0,1,0] op_sel_hi:[1,1,0]
	v_fma_mix_f32 v14, v60, v78, v14 op_sel_hi:[1,1,0]
	v_fma_mix_f32 v14, v67, v78, v14 op_sel:[0,1,0] op_sel_hi:[1,1,0]
	v_fma_mixlo_f16 v14, v14, v19, 0 op_sel_hi:[0,1,0]
	v_add_f16_e32 v74, v32, v14
	v_fma_mix_f32 v14, v92, v75, 0 op_sel_hi:[1,1,0]
	v_fma_mix_f32 v14, v93, v75, v14 op_sel:[0,1,0] op_sel_hi:[1,1,0]
	v_fma_mix_f32 v14, v94, v76, v14 op_sel_hi:[1,1,0]
	v_fma_mix_f32 v14, v95, v76, v14 op_sel:[0,1,0] op_sel_hi:[1,1,0]
	v_fma_mix_f32 v14, v96, v77, v14 op_sel_hi:[1,1,0]
	v_fma_mix_f32 v14, v97, v77, v14 op_sel:[0,1,0] op_sel_hi:[1,1,0]
	v_fma_mix_f32 v14, v98, v78, v14 op_sel_hi:[1,1,0]
	v_fma_mix_f32 v14, v102, v78, v14 op_sel:[0,1,0] op_sel_hi:[1,1,0]
	ds_read_b128 v[76:79], v27 offset:768
	v_fma_mixlo_f16 v14, v14, v19, 0 op_sel:[0,1,0] op_sel_hi:[0,1,0]
	v_add_f16_sdwa v75, v32, v14 dst_sel:DWORD dst_unused:UNUSED_PAD src0_sel:WORD_1 src1_sel:DWORD
	s_waitcnt lgkmcnt(0)
	v_fma_mix_f32 v14, v37, v76, 0 op_sel_hi:[1,1,0]
	v_fma_mix_f32 v14, v38, v76, v14 op_sel:[0,1,0] op_sel_hi:[1,1,0]
	v_fma_mix_f32 v14, v39, v77, v14 op_sel_hi:[1,1,0]
	v_fma_mix_f32 v14, v40, v77, v14 op_sel:[0,1,0] op_sel_hi:[1,1,0]
	v_fma_mix_f32 v14, v41, v78, v14 op_sel_hi:[1,1,0]
	v_fma_mix_f32 v14, v42, v78, v14 op_sel:[0,1,0] op_sel_hi:[1,1,0]
	v_fma_mix_f32 v14, v44, v79, v14 op_sel_hi:[1,1,0]
	v_fma_mix_f32 v14, v45, v79, v14 op_sel:[0,1,0] op_sel_hi:[1,1,0]
	v_fma_mixlo_f16 v14, v14, v18, 0 op_sel_hi:[0,1,0]
	v_add_f16_e32 v80, v43, v14
	v_fma_mix_f32 v14, v46, v76, 0 op_sel_hi:[1,1,0]
	v_fma_mix_f32 v14, v47, v76, v14 op_sel:[0,1,0] op_sel_hi:[1,1,0]
	v_fma_mix_f32 v14, v48, v77, v14 op_sel_hi:[1,1,0]
	v_fma_mix_f32 v14, v49, v77, v14 op_sel:[0,1,0] op_sel_hi:[1,1,0]
	v_fma_mix_f32 v14, v50, v78, v14 op_sel_hi:[1,1,0]
	v_fma_mix_f32 v14, v51, v78, v14 op_sel:[0,1,0] op_sel_hi:[1,1,0]
	v_fma_mix_f32 v14, v52, v79, v14 op_sel_hi:[1,1,0]
	v_fma_mix_f32 v14, v53, v79, v14 op_sel:[0,1,0] op_sel_hi:[1,1,0]
	v_fma_mixlo_f16 v14, v14, v18, 0 op_sel:[0,1,0] op_sel_hi:[0,1,0]
	v_add_f16_sdwa v81, v43, v14 dst_sel:DWORD dst_unused:UNUSED_PAD src0_sel:WORD_1 src1_sel:DWORD
	v_fma_mix_f32 v14, v54, v76, 0 op_sel_hi:[1,1,0]
	v_fma_mix_f32 v14, v55, v76, v14 op_sel:[0,1,0] op_sel_hi:[1,1,0]
	v_fma_mix_f32 v14, v56, v77, v14 op_sel_hi:[1,1,0]
	v_fma_mix_f32 v14, v57, v77, v14 op_sel:[0,1,0] op_sel_hi:[1,1,0]
	v_fma_mix_f32 v14, v58, v78, v14 op_sel_hi:[1,1,0]
	v_fma_mix_f32 v14, v59, v78, v14 op_sel:[0,1,0] op_sel_hi:[1,1,0]
	v_fma_mix_f32 v14, v60, v79, v14 op_sel_hi:[1,1,0]
	v_fma_mix_f32 v14, v67, v79, v14 op_sel:[0,1,0] op_sel_hi:[1,1,0]
	v_fma_mixlo_f16 v14, v14, v19, 0 op_sel_hi:[0,1,0]
	v_add_f16_e32 v82, v35, v14
	v_fma_mix_f32 v14, v92, v76, 0 op_sel_hi:[1,1,0]
	v_fma_mix_f32 v14, v93, v76, v14 op_sel:[0,1,0] op_sel_hi:[1,1,0]
	v_fma_mix_f32 v14, v94, v77, v14 op_sel_hi:[1,1,0]
	v_fma_mix_f32 v14, v95, v77, v14 op_sel:[0,1,0] op_sel_hi:[1,1,0]
	v_fma_mix_f32 v14, v96, v78, v14 op_sel_hi:[1,1,0]
	v_fma_mix_f32 v14, v97, v78, v14 op_sel:[0,1,0] op_sel_hi:[1,1,0]
	v_fma_mix_f32 v14, v98, v79, v14 op_sel_hi:[1,1,0]
	v_fma_mix_f32 v14, v102, v79, v14 op_sel:[0,1,0] op_sel_hi:[1,1,0]
	ds_read_b128 v[76:79], v27 offset:1024
	v_fma_mixlo_f16 v14, v14, v19, 0 op_sel:[0,1,0] op_sel_hi:[0,1,0]
	v_add_f16_sdwa v83, v35, v14 dst_sel:DWORD dst_unused:UNUSED_PAD src0_sel:WORD_1 src1_sel:DWORD
	s_waitcnt lgkmcnt(0)
	v_fma_mix_f32 v14, v37, v76, 0 op_sel_hi:[1,1,0]
	v_fma_mix_f32 v14, v38, v76, v14 op_sel:[0,1,0] op_sel_hi:[1,1,0]
	v_fma_mix_f32 v14, v39, v77, v14 op_sel_hi:[1,1,0]
	v_fma_mix_f32 v14, v40, v77, v14 op_sel:[0,1,0] op_sel_hi:[1,1,0]
	v_fma_mix_f32 v14, v41, v78, v14 op_sel_hi:[1,1,0]
	v_fma_mix_f32 v14, v42, v78, v14 op_sel:[0,1,0] op_sel_hi:[1,1,0]
	v_fma_mix_f32 v14, v44, v79, v14 op_sel_hi:[1,1,0]
	v_fma_mix_f32 v14, v45, v79, v14 op_sel:[0,1,0] op_sel_hi:[1,1,0]
	v_fma_mixlo_f16 v14, v14, v18, 0 op_sel_hi:[0,1,0]
	v_add_f16_e32 v88, v62, v14
	v_fma_mix_f32 v14, v46, v76, 0 op_sel_hi:[1,1,0]
	v_fma_mix_f32 v14, v47, v76, v14 op_sel:[0,1,0] op_sel_hi:[1,1,0]
	v_fma_mix_f32 v14, v48, v77, v14 op_sel_hi:[1,1,0]
	v_fma_mix_f32 v14, v49, v77, v14 op_sel:[0,1,0] op_sel_hi:[1,1,0]
	v_fma_mix_f32 v14, v50, v78, v14 op_sel_hi:[1,1,0]
	v_fma_mix_f32 v14, v51, v78, v14 op_sel:[0,1,0] op_sel_hi:[1,1,0]
	v_fma_mix_f32 v14, v52, v79, v14 op_sel_hi:[1,1,0]
	v_fma_mix_f32 v14, v53, v79, v14 op_sel:[0,1,0] op_sel_hi:[1,1,0]
	v_fma_mixlo_f16 v14, v14, v18, 0 op_sel:[0,1,0] op_sel_hi:[0,1,0]
	v_add_f16_sdwa v89, v62, v14 dst_sel:DWORD dst_unused:UNUSED_PAD src0_sel:WORD_1 src1_sel:DWORD
	;; [unrolled: 42-line block ×3, first 2 shown]
	v_fma_mix_f32 v14, v54, v76, 0 op_sel_hi:[1,1,0]
	v_fma_mix_f32 v14, v55, v76, v14 op_sel:[0,1,0] op_sel_hi:[1,1,0]
	v_fma_mix_f32 v14, v56, v77, v14 op_sel_hi:[1,1,0]
	v_fma_mix_f32 v14, v57, v77, v14 op_sel:[0,1,0] op_sel_hi:[1,1,0]
	;; [unrolled: 2-line block ×4, first 2 shown]
	v_fma_mixlo_f16 v14, v14, v19, 0 op_sel_hi:[0,1,0]
	v_add_f16_e32 v86, v63, v14
	v_fma_mix_f32 v14, v92, v76, 0 op_sel_hi:[1,1,0]
	v_fma_mix_f32 v14, v93, v76, v14 op_sel:[0,1,0] op_sel_hi:[1,1,0]
	v_fma_mix_f32 v14, v94, v77, v14 op_sel_hi:[1,1,0]
	v_fma_mix_f32 v14, v95, v77, v14 op_sel:[0,1,0] op_sel_hi:[1,1,0]
	;; [unrolled: 2-line block ×4, first 2 shown]
	v_fma_mixlo_f16 v14, v14, v19, 0 op_sel:[0,1,0] op_sel_hi:[0,1,0]
	v_add_f16_sdwa v87, v63, v14 dst_sel:DWORD dst_unused:UNUSED_PAD src0_sel:WORD_1 src1_sel:DWORD
	ds_read_b128 v[61:64], v27 offset:1536
	s_waitcnt lgkmcnt(0)
	v_fma_mix_f32 v14, v37, v61, 0 op_sel_hi:[1,1,0]
	v_fma_mix_f32 v14, v38, v61, v14 op_sel:[0,1,0] op_sel_hi:[1,1,0]
	v_fma_mix_f32 v14, v39, v62, v14 op_sel_hi:[1,1,0]
	v_fma_mix_f32 v14, v40, v62, v14 op_sel:[0,1,0] op_sel_hi:[1,1,0]
	;; [unrolled: 2-line block ×4, first 2 shown]
	v_fma_mixlo_f16 v14, v14, v18, 0 op_sel_hi:[0,1,0]
	v_add_f16_e32 v76, v66, v14
	v_fma_mix_f32 v14, v46, v61, 0 op_sel_hi:[1,1,0]
	v_fma_mix_f32 v14, v47, v61, v14 op_sel:[0,1,0] op_sel_hi:[1,1,0]
	v_fma_mix_f32 v14, v48, v62, v14 op_sel_hi:[1,1,0]
	v_fma_mix_f32 v14, v49, v62, v14 op_sel:[0,1,0] op_sel_hi:[1,1,0]
	v_fma_mix_f32 v14, v50, v63, v14 op_sel_hi:[1,1,0]
	v_fma_mix_f32 v14, v51, v63, v14 op_sel:[0,1,0] op_sel_hi:[1,1,0]
	v_fma_mix_f32 v14, v52, v64, v14 op_sel_hi:[1,1,0]
	v_fma_mix_f32 v14, v53, v64, v14 op_sel:[0,1,0] op_sel_hi:[1,1,0]
	v_fma_mixlo_f16 v14, v14, v18, 0 op_sel:[0,1,0] op_sel_hi:[0,1,0]
	v_add_f16_sdwa v77, v66, v14 dst_sel:DWORD dst_unused:UNUSED_PAD src0_sel:WORD_1 src1_sel:DWORD
	v_fma_mix_f32 v14, v54, v61, 0 op_sel_hi:[1,1,0]
	v_fma_mix_f32 v14, v55, v61, v14 op_sel:[0,1,0] op_sel_hi:[1,1,0]
	v_fma_mix_f32 v14, v56, v62, v14 op_sel_hi:[1,1,0]
	v_fma_mix_f32 v14, v57, v62, v14 op_sel:[0,1,0] op_sel_hi:[1,1,0]
	;; [unrolled: 2-line block ×4, first 2 shown]
	v_fma_mixlo_f16 v14, v14, v19, 0 op_sel_hi:[0,1,0]
	v_add_f16_e32 v78, v65, v14
	v_fma_mix_f32 v14, v92, v61, 0 op_sel_hi:[1,1,0]
	v_fma_mix_f32 v14, v93, v61, v14 op_sel:[0,1,0] op_sel_hi:[1,1,0]
	v_fma_mix_f32 v14, v94, v62, v14 op_sel_hi:[1,1,0]
	v_fma_mix_f32 v14, v95, v62, v14 op_sel:[0,1,0] op_sel_hi:[1,1,0]
	;; [unrolled: 2-line block ×4, first 2 shown]
	ds_read_b128 v[61:64], v27 offset:1792
	v_fma_mixlo_f16 v14, v14, v19, 0 op_sel:[0,1,0] op_sel_hi:[0,1,0]
	v_add_f16_sdwa v79, v65, v14 dst_sel:DWORD dst_unused:UNUSED_PAD src0_sel:WORD_1 src1_sel:DWORD
	s_waitcnt lgkmcnt(0)
	v_fma_mix_f32 v14, v37, v61, 0 op_sel_hi:[1,1,0]
	v_fma_mix_f32 v14, v38, v61, v14 op_sel:[0,1,0] op_sel_hi:[1,1,0]
	v_fma_mix_f32 v14, v39, v62, v14 op_sel_hi:[1,1,0]
	v_fma_mix_f32 v14, v40, v62, v14 op_sel:[0,1,0] op_sel_hi:[1,1,0]
	;; [unrolled: 2-line block ×4, first 2 shown]
	v_fma_mixlo_f16 v14, v14, v18, 0 op_sel_hi:[0,1,0]
	v_add_f16_e32 v39, v34, v14
	v_fma_mix_f32 v14, v46, v61, 0 op_sel_hi:[1,1,0]
	v_fma_mix_f32 v14, v47, v61, v14 op_sel:[0,1,0] op_sel_hi:[1,1,0]
	v_fma_mix_f32 v14, v48, v62, v14 op_sel_hi:[1,1,0]
	v_fma_mix_f32 v14, v49, v62, v14 op_sel:[0,1,0] op_sel_hi:[1,1,0]
	;; [unrolled: 2-line block ×4, first 2 shown]
	v_fma_mixlo_f16 v14, v14, v18, 0 op_sel:[0,1,0] op_sel_hi:[0,1,0]
	v_add_f16_sdwa v20, v34, v14 dst_sel:DWORD dst_unused:UNUSED_PAD src0_sel:WORD_1 src1_sel:DWORD
	v_fma_mix_f32 v14, v54, v61, 0 op_sel_hi:[1,1,0]
	global_load_dwordx4 v[32:35], v[12:13], off
	v_add_co_u32 v12, vcc_lo, v12, s2
	v_add_co_ci_u32_e64 v13, null, s3, v13, vcc_lo
	v_fma_mix_f32 v14, v55, v61, v14 op_sel:[0,1,0] op_sel_hi:[1,1,0]
	v_fma_mix_f32 v14, v56, v62, v14 op_sel_hi:[1,1,0]
	v_fma_mix_f32 v14, v57, v62, v14 op_sel:[0,1,0] op_sel_hi:[1,1,0]
	v_fma_mix_f32 v14, v58, v63, v14 op_sel_hi:[1,1,0]
	;; [unrolled: 2-line block ×3, first 2 shown]
	v_fma_mix_f32 v14, v67, v64, v14 op_sel:[0,1,0] op_sel_hi:[1,1,0]
	v_fma_mixlo_f16 v14, v14, v19, 0 op_sel_hi:[0,1,0]
	v_add_f16_e32 v15, v36, v14
	v_fma_mix_f32 v14, v92, v61, 0 op_sel_hi:[1,1,0]
	v_fma_mix_f32 v14, v93, v61, v14 op_sel:[0,1,0] op_sel_hi:[1,1,0]
	v_fma_mix_f32 v14, v94, v62, v14 op_sel_hi:[1,1,0]
	v_fma_mix_f32 v14, v95, v62, v14 op_sel:[0,1,0] op_sel_hi:[1,1,0]
	global_load_dwordx4 v[92:95], v[12:13], off
	v_fma_mix_f32 v14, v96, v63, v14 op_sel_hi:[1,1,0]
	v_fma_mix_f32 v14, v97, v63, v14 op_sel:[0,1,0] op_sel_hi:[1,1,0]
	v_fma_mix_f32 v14, v98, v64, v14 op_sel_hi:[1,1,0]
	v_fma_mix_f32 v14, v102, v64, v14 op_sel:[0,1,0] op_sel_hi:[1,1,0]
	v_fma_mixlo_f16 v14, v14, v19, 0 op_sel:[0,1,0] op_sel_hi:[0,1,0]
	v_add_f16_sdwa v14, v36, v14 dst_sel:DWORD dst_unused:UNUSED_PAD src0_sel:WORD_1 src1_sel:DWORD
	s_waitcnt vmcnt(1)
	v_sub_nc_u32_sdwa v21, v32, v31 dst_sel:DWORD dst_unused:UNUSED_PAD src0_sel:BYTE_0 src1_sel:DWORD
	v_cvt_f32_i32_e32 v21, v21
	v_cvt_f16_f32_e32 v57, v21
	v_sub_nc_u32_sdwa v21, v32, v31 dst_sel:DWORD dst_unused:UNUSED_PAD src0_sel:BYTE_1 src1_sel:DWORD
	v_cvt_f32_i32_e32 v21, v21
	v_cvt_f16_f32_e32 v59, v21
	v_sub_nc_u32_sdwa v21, v32, v31 dst_sel:DWORD dst_unused:UNUSED_PAD src0_sel:BYTE_2 src1_sel:DWORD
	v_cvt_f32_i32_e32 v21, v21
	v_cvt_f16_f32_e32 v61, v21
	v_sub_nc_u32_sdwa v21, v32, v31 dst_sel:DWORD dst_unused:UNUSED_PAD src0_sel:BYTE_3 src1_sel:DWORD
	v_fma_mix_f32 v32, v57, v8, 0 op_sel_hi:[1,1,0]
	v_cvt_f32_i32_e32 v21, v21
	v_fma_mix_f32 v32, v59, v8, v32 op_sel:[0,1,0] op_sel_hi:[1,1,0]
	v_cvt_f16_f32_e32 v63, v21
	v_fma_mix_f32 v32, v61, v9, v32 op_sel_hi:[1,1,0]
	v_fma_mix_f32 v32, v63, v9, v32 op_sel:[0,1,0] op_sel_hi:[1,1,0]
	s_waitcnt vmcnt(0)
	v_sub_nc_u32_sdwa v21, v92, v31 dst_sel:DWORD dst_unused:UNUSED_PAD src0_sel:BYTE_0 src1_sel:DWORD
	v_cvt_f32_i32_e32 v21, v21
	v_cvt_f16_f32_e32 v64, v21
	v_sub_nc_u32_sdwa v21, v92, v31 dst_sel:DWORD dst_unused:UNUSED_PAD src0_sel:BYTE_1 src1_sel:DWORD
	v_fma_mix_f32 v32, v64, v10, v32 op_sel_hi:[1,1,0]
	v_cvt_f32_i32_e32 v21, v21
	v_cvt_f16_f32_e32 v65, v21
	v_sub_nc_u32_sdwa v21, v92, v31 dst_sel:DWORD dst_unused:UNUSED_PAD src0_sel:BYTE_2 src1_sel:DWORD
	v_fma_mix_f32 v32, v65, v10, v32 op_sel:[0,1,0] op_sel_hi:[1,1,0]
	v_cvt_f32_i32_e32 v21, v21
	v_cvt_f16_f32_e32 v66, v21
	v_sub_nc_u32_sdwa v21, v92, v31 dst_sel:DWORD dst_unused:UNUSED_PAD src0_sel:BYTE_3 src1_sel:DWORD
	v_fma_mix_f32 v32, v66, v11, v32 op_sel_hi:[1,1,0]
	v_cvt_f32_i32_e32 v21, v21
	v_cvt_f16_f32_e32 v67, v21
	v_sub_nc_u32_sdwa v21, v33, v30 dst_sel:DWORD dst_unused:UNUSED_PAD src0_sel:BYTE_0 src1_sel:DWORD
	v_fma_mix_f32 v32, v67, v11, v32 op_sel:[0,1,0] op_sel_hi:[1,1,0]
	v_cvt_f32_i32_e32 v21, v21
	v_fma_mixlo_f16 v32, v32, v18, 0 op_sel_hi:[0,1,0]
	v_cvt_f16_f32_e32 v49, v21
	v_sub_nc_u32_sdwa v21, v33, v30 dst_sel:DWORD dst_unused:UNUSED_PAD src0_sel:BYTE_1 src1_sel:DWORD
	v_cvt_f32_i32_e32 v21, v21
	v_cvt_f16_f32_e32 v51, v21
	v_sub_nc_u32_sdwa v21, v33, v30 dst_sel:DWORD dst_unused:UNUSED_PAD src0_sel:BYTE_2 src1_sel:DWORD
	v_cvt_f32_i32_e32 v21, v21
	v_cvt_f16_f32_e32 v53, v21
	v_sub_nc_u32_sdwa v21, v33, v30 dst_sel:DWORD dst_unused:UNUSED_PAD src0_sel:BYTE_3 src1_sel:DWORD
	v_cvt_f32_i32_e32 v21, v21
	v_cvt_f16_f32_e32 v55, v21
	v_sub_nc_u32_sdwa v21, v93, v30 dst_sel:DWORD dst_unused:UNUSED_PAD src0_sel:BYTE_0 src1_sel:DWORD
	v_cvt_f32_i32_e32 v21, v21
	v_cvt_f16_f32_e32 v56, v21
	v_sub_nc_u32_sdwa v21, v93, v30 dst_sel:DWORD dst_unused:UNUSED_PAD src0_sel:BYTE_1 src1_sel:DWORD
	v_cvt_f32_i32_e32 v21, v21
	v_cvt_f16_f32_e32 v58, v21
	v_sub_nc_u32_sdwa v21, v93, v30 dst_sel:DWORD dst_unused:UNUSED_PAD src0_sel:BYTE_2 src1_sel:DWORD
	v_cvt_f32_i32_e32 v21, v21
	v_cvt_f16_f32_e32 v60, v21
	v_sub_nc_u32_sdwa v21, v93, v30 dst_sel:DWORD dst_unused:UNUSED_PAD src0_sel:BYTE_3 src1_sel:DWORD
	v_cvt_f32_i32_e32 v21, v21
	v_cvt_f16_f32_e32 v62, v21
	v_sub_nc_u32_sdwa v21, v34, v29 dst_sel:DWORD dst_unused:UNUSED_PAD src0_sel:BYTE_0 src1_sel:DWORD
	v_cvt_f32_i32_e32 v21, v21
	;; [unrolled: 12-line block ×4, first 2 shown]
	v_cvt_f16_f32_e32 v42, v21
	v_sub_nc_u32_sdwa v21, v35, v28 dst_sel:DWORD dst_unused:UNUSED_PAD src0_sel:BYTE_1 src1_sel:DWORD
	v_cvt_f32_i32_e32 v21, v21
	v_cvt_f16_f32_e32 v43, v21
	v_sub_nc_u32_sdwa v21, v35, v28 dst_sel:DWORD dst_unused:UNUSED_PAD src0_sel:BYTE_2 src1_sel:DWORD
	v_cvt_f32_i32_e32 v21, v21
	v_cvt_f16_f32_e32 v41, v21
	v_sub_nc_u32_sdwa v21, v35, v28 dst_sel:DWORD dst_unused:UNUSED_PAD src0_sel:BYTE_3 src1_sel:DWORD
	v_add_f16_e32 v35, v99, v32
	v_fma_mix_f32 v32, v49, v8, 0 op_sel_hi:[1,1,0]
	v_cvt_f32_i32_e32 v21, v21
	v_fma_mix_f32 v32, v51, v8, v32 op_sel:[0,1,0] op_sel_hi:[1,1,0]
	v_cvt_f16_f32_e32 v40, v21
	v_sub_nc_u32_sdwa v21, v95, v28 dst_sel:DWORD dst_unused:UNUSED_PAD src0_sel:BYTE_0 src1_sel:DWORD
	v_fma_mix_f32 v32, v53, v9, v32 op_sel_hi:[1,1,0]
	v_cvt_f32_i32_e32 v21, v21
	v_fma_mix_f32 v32, v55, v9, v32 op_sel:[0,1,0] op_sel_hi:[1,1,0]
	v_cvt_f16_f32_e32 v38, v21
	v_fma_mix_f32 v32, v56, v10, v32 op_sel_hi:[1,1,0]
	v_sub_nc_u32_sdwa v21, v95, v28 dst_sel:DWORD dst_unused:UNUSED_PAD src0_sel:BYTE_1 src1_sel:DWORD
	v_fma_mix_f32 v32, v58, v10, v32 op_sel:[0,1,0] op_sel_hi:[1,1,0]
	v_cvt_f32_i32_e32 v21, v21
	v_fma_mix_f32 v32, v60, v11, v32 op_sel_hi:[1,1,0]
	v_cvt_f16_f32_e32 v37, v21
	v_sub_nc_u32_sdwa v21, v95, v28 dst_sel:DWORD dst_unused:UNUSED_PAD src0_sel:BYTE_2 src1_sel:DWORD
	v_fma_mix_f32 v32, v62, v11, v32 op_sel:[0,1,0] op_sel_hi:[1,1,0]
	v_cvt_f32_i32_e32 v21, v21
	v_fma_mixlo_f16 v32, v32, v18, 0 op_sel:[0,1,0] op_sel_hi:[0,1,0]
	v_cvt_f16_f32_e32 v36, v21
	v_sub_nc_u32_sdwa v21, v95, v28 dst_sel:DWORD dst_unused:UNUSED_PAD src0_sel:BYTE_3 src1_sel:DWORD
	v_add_f16_e32 v34, v100, v32
	v_fma_mix_f32 v32, v44, v8, 0 op_sel_hi:[1,1,0]
	v_cvt_f32_i32_e32 v21, v21
	v_fma_mix_f32 v32, v45, v8, v32 op_sel:[0,1,0] op_sel_hi:[1,1,0]
	v_cvt_f16_f32_e32 v21, v21
	v_fma_mix_f32 v32, v46, v9, v32 op_sel_hi:[1,1,0]
	v_fma_mix_f32 v32, v47, v9, v32 op_sel:[0,1,0] op_sel_hi:[1,1,0]
	v_fma_mix_f32 v32, v48, v10, v32 op_sel_hi:[1,1,0]
	v_fma_mix_f32 v32, v50, v10, v32 op_sel:[0,1,0] op_sel_hi:[1,1,0]
	v_fma_mix_f32 v32, v52, v11, v32 op_sel_hi:[1,1,0]
	v_fma_mix_f32 v32, v54, v11, v32 op_sel:[0,1,0] op_sel_hi:[1,1,0]
	v_fma_mixlo_f16 v32, v32, v19, 0 op_sel_hi:[0,1,0]
	v_add_f16_e32 v33, v101, v32
	v_fma_mix_f32 v32, v42, v8, 0 op_sel_hi:[1,1,0]
	v_fma_mix_f32 v8, v43, v8, v32 op_sel:[0,1,0] op_sel_hi:[1,1,0]
	v_fma_mix_f32 v8, v41, v9, v8 op_sel_hi:[1,1,0]
	v_fma_mix_f32 v8, v40, v9, v8 op_sel:[0,1,0] op_sel_hi:[1,1,0]
	v_fma_mix_f32 v8, v38, v10, v8 op_sel_hi:[1,1,0]
	v_fma_mix_f32 v8, v37, v10, v8 op_sel:[0,1,0] op_sel_hi:[1,1,0]
	v_fma_mix_f32 v8, v36, v11, v8 op_sel_hi:[1,1,0]
	v_fma_mix_f32 v8, v21, v11, v8 op_sel:[0,1,0] op_sel_hi:[1,1,0]
	v_fma_mixlo_f16 v8, v8, v19, 0 op_sel:[0,1,0] op_sel_hi:[0,1,0]
	v_add_f16_e32 v32, v103, v8
	ds_read_b128 v[8:11], v27 offset:272
	s_waitcnt lgkmcnt(0)
	v_fma_mix_f32 v92, v57, v8, 0 op_sel_hi:[1,1,0]
	v_fma_mix_f32 v92, v59, v8, v92 op_sel:[0,1,0] op_sel_hi:[1,1,0]
	v_fma_mix_f32 v92, v61, v9, v92 op_sel_hi:[1,1,0]
	v_fma_mix_f32 v92, v63, v9, v92 op_sel:[0,1,0] op_sel_hi:[1,1,0]
	v_fma_mix_f32 v92, v64, v10, v92 op_sel_hi:[1,1,0]
	v_fma_mix_f32 v92, v65, v10, v92 op_sel:[0,1,0] op_sel_hi:[1,1,0]
	v_fma_mix_f32 v92, v66, v11, v92 op_sel_hi:[1,1,0]
	v_fma_mix_f32 v92, v67, v11, v92 op_sel:[0,1,0] op_sel_hi:[1,1,0]
	v_fma_mixlo_f16 v92, v92, v18, 0 op_sel_hi:[0,1,0]
	v_add_f16_e32 v68, v68, v92
	v_fma_mix_f32 v92, v49, v8, 0 op_sel_hi:[1,1,0]
	v_fma_mix_f32 v92, v51, v8, v92 op_sel:[0,1,0] op_sel_hi:[1,1,0]
	v_fma_mix_f32 v92, v53, v9, v92 op_sel_hi:[1,1,0]
	v_fma_mix_f32 v92, v55, v9, v92 op_sel:[0,1,0] op_sel_hi:[1,1,0]
	v_fma_mix_f32 v92, v56, v10, v92 op_sel_hi:[1,1,0]
	v_fma_mix_f32 v92, v58, v10, v92 op_sel:[0,1,0] op_sel_hi:[1,1,0]
	v_fma_mix_f32 v92, v60, v11, v92 op_sel_hi:[1,1,0]
	v_fma_mix_f32 v92, v62, v11, v92 op_sel:[0,1,0] op_sel_hi:[1,1,0]
	v_fma_mixlo_f16 v92, v92, v18, 0 op_sel:[0,1,0] op_sel_hi:[0,1,0]
	v_add_f16_e32 v69, v69, v92
	v_fma_mix_f32 v92, v44, v8, 0 op_sel_hi:[1,1,0]
	v_fma_mix_f32 v92, v45, v8, v92 op_sel:[0,1,0] op_sel_hi:[1,1,0]
	v_fma_mix_f32 v92, v46, v9, v92 op_sel_hi:[1,1,0]
	v_fma_mix_f32 v92, v47, v9, v92 op_sel:[0,1,0] op_sel_hi:[1,1,0]
	v_fma_mix_f32 v92, v48, v10, v92 op_sel_hi:[1,1,0]
	v_fma_mix_f32 v92, v50, v10, v92 op_sel:[0,1,0] op_sel_hi:[1,1,0]
	v_fma_mix_f32 v92, v52, v11, v92 op_sel_hi:[1,1,0]
	v_fma_mix_f32 v92, v54, v11, v92 op_sel:[0,1,0] op_sel_hi:[1,1,0]
	v_fma_mixlo_f16 v92, v92, v19, 0 op_sel_hi:[0,1,0]
	v_add_f16_e32 v70, v70, v92
	v_fma_mix_f32 v92, v42, v8, 0 op_sel_hi:[1,1,0]
	v_fma_mix_f32 v8, v43, v8, v92 op_sel:[0,1,0] op_sel_hi:[1,1,0]
	v_fma_mix_f32 v8, v41, v9, v8 op_sel_hi:[1,1,0]
	v_fma_mix_f32 v8, v40, v9, v8 op_sel:[0,1,0] op_sel_hi:[1,1,0]
	v_fma_mix_f32 v8, v38, v10, v8 op_sel_hi:[1,1,0]
	v_fma_mix_f32 v8, v37, v10, v8 op_sel:[0,1,0] op_sel_hi:[1,1,0]
	v_fma_mix_f32 v8, v36, v11, v8 op_sel_hi:[1,1,0]
	v_fma_mix_f32 v8, v21, v11, v8 op_sel:[0,1,0] op_sel_hi:[1,1,0]
	v_fma_mixlo_f16 v8, v8, v19, 0 op_sel:[0,1,0] op_sel_hi:[0,1,0]
	v_add_f16_e32 v71, v71, v8
	ds_read_b128 v[8:11], v27 offset:528
	s_waitcnt lgkmcnt(0)
	v_fma_mix_f32 v92, v57, v8, 0 op_sel_hi:[1,1,0]
	v_fma_mix_f32 v92, v59, v8, v92 op_sel:[0,1,0] op_sel_hi:[1,1,0]
	v_fma_mix_f32 v92, v61, v9, v92 op_sel_hi:[1,1,0]
	v_fma_mix_f32 v92, v63, v9, v92 op_sel:[0,1,0] op_sel_hi:[1,1,0]
	v_fma_mix_f32 v92, v64, v10, v92 op_sel_hi:[1,1,0]
	v_fma_mix_f32 v92, v65, v10, v92 op_sel:[0,1,0] op_sel_hi:[1,1,0]
	v_fma_mix_f32 v92, v66, v11, v92 op_sel_hi:[1,1,0]
	v_fma_mix_f32 v92, v67, v11, v92 op_sel:[0,1,0] op_sel_hi:[1,1,0]
	v_fma_mixlo_f16 v92, v92, v18, 0 op_sel_hi:[0,1,0]
	v_add_f16_e32 v72, v72, v92
	v_fma_mix_f32 v92, v49, v8, 0 op_sel_hi:[1,1,0]
	v_fma_mix_f32 v92, v51, v8, v92 op_sel:[0,1,0] op_sel_hi:[1,1,0]
	v_fma_mix_f32 v92, v53, v9, v92 op_sel_hi:[1,1,0]
	v_fma_mix_f32 v92, v55, v9, v92 op_sel:[0,1,0] op_sel_hi:[1,1,0]
	v_fma_mix_f32 v92, v56, v10, v92 op_sel_hi:[1,1,0]
	v_fma_mix_f32 v92, v58, v10, v92 op_sel:[0,1,0] op_sel_hi:[1,1,0]
	v_fma_mix_f32 v92, v60, v11, v92 op_sel_hi:[1,1,0]
	v_fma_mix_f32 v92, v62, v11, v92 op_sel:[0,1,0] op_sel_hi:[1,1,0]
	v_fma_mixlo_f16 v92, v92, v18, 0 op_sel:[0,1,0] op_sel_hi:[0,1,0]
	v_add_f16_e32 v73, v73, v92
	v_fma_mix_f32 v92, v44, v8, 0 op_sel_hi:[1,1,0]
	v_fma_mix_f32 v92, v45, v8, v92 op_sel:[0,1,0] op_sel_hi:[1,1,0]
	;; [unrolled: 42-line block ×6, first 2 shown]
	v_fma_mix_f32 v92, v46, v9, v92 op_sel_hi:[1,1,0]
	v_fma_mix_f32 v92, v47, v9, v92 op_sel:[0,1,0] op_sel_hi:[1,1,0]
	v_fma_mix_f32 v92, v48, v10, v92 op_sel_hi:[1,1,0]
	v_fma_mix_f32 v92, v50, v10, v92 op_sel:[0,1,0] op_sel_hi:[1,1,0]
	;; [unrolled: 2-line block ×3, first 2 shown]
	v_fma_mixlo_f16 v92, v92, v19, 0 op_sel_hi:[0,1,0]
	v_add_f16_e32 v78, v78, v92
	v_fma_mix_f32 v92, v42, v8, 0 op_sel_hi:[1,1,0]
	v_fma_mix_f32 v8, v43, v8, v92 op_sel:[0,1,0] op_sel_hi:[1,1,0]
	v_fma_mix_f32 v8, v41, v9, v8 op_sel_hi:[1,1,0]
	v_fma_mix_f32 v8, v40, v9, v8 op_sel:[0,1,0] op_sel_hi:[1,1,0]
	v_fma_mix_f32 v8, v38, v10, v8 op_sel_hi:[1,1,0]
	v_fma_mix_f32 v8, v37, v10, v8 op_sel:[0,1,0] op_sel_hi:[1,1,0]
	v_fma_mix_f32 v8, v36, v11, v8 op_sel_hi:[1,1,0]
	v_fma_mix_f32 v8, v21, v11, v8 op_sel:[0,1,0] op_sel_hi:[1,1,0]
	v_fma_mixlo_f16 v8, v8, v19, 0 op_sel:[0,1,0] op_sel_hi:[0,1,0]
	v_add_f16_e32 v79, v79, v8
	ds_read_b128 v[8:11], v27 offset:1808
	s_waitcnt lgkmcnt(0)
	v_fma_mix_f32 v49, v49, v8, 0 op_sel_hi:[1,1,0]
	v_fma_mix_f32 v57, v57, v8, 0 op_sel_hi:[1,1,0]
	v_fma_mix_f32 v49, v51, v8, v49 op_sel:[0,1,0] op_sel_hi:[1,1,0]
	v_fma_mix_f32 v57, v59, v8, v57 op_sel:[0,1,0] op_sel_hi:[1,1,0]
	v_fma_mix_f32 v49, v53, v9, v49 op_sel_hi:[1,1,0]
	v_fma_mix_f32 v57, v61, v9, v57 op_sel_hi:[1,1,0]
	v_fma_mix_f32 v49, v55, v9, v49 op_sel:[0,1,0] op_sel_hi:[1,1,0]
	v_fma_mix_f32 v57, v63, v9, v57 op_sel:[0,1,0] op_sel_hi:[1,1,0]
	;; [unrolled: 4-line block ×4, first 2 shown]
	v_fma_mixlo_f16 v49, v49, v18, 0 op_sel:[0,1,0] op_sel_hi:[0,1,0]
	v_fma_mixlo_f16 v57, v57, v18, 0 op_sel_hi:[0,1,0]
	v_add_f16_e32 v49, v20, v49
	v_fma_mix_f32 v20, v44, v8, 0 op_sel_hi:[1,1,0]
	v_add_f16_e32 v39, v39, v57
	v_fma_mix_f32 v20, v45, v8, v20 op_sel:[0,1,0] op_sel_hi:[1,1,0]
	v_fma_mix_f32 v20, v46, v9, v20 op_sel_hi:[1,1,0]
	v_fma_mix_f32 v20, v47, v9, v20 op_sel:[0,1,0] op_sel_hi:[1,1,0]
	v_fma_mix_f32 v20, v48, v10, v20 op_sel_hi:[1,1,0]
	;; [unrolled: 2-line block ×3, first 2 shown]
	v_fma_mix_f32 v20, v54, v11, v20 op_sel:[0,1,0] op_sel_hi:[1,1,0]
	v_fma_mixlo_f16 v20, v20, v19, 0 op_sel_hi:[0,1,0]
	v_add_f16_e32 v44, v15, v20
	v_fma_mix_f32 v15, v42, v8, 0 op_sel_hi:[1,1,0]
	v_fma_mix_f32 v8, v43, v8, v15 op_sel:[0,1,0] op_sel_hi:[1,1,0]
	v_fma_mix_f32 v8, v41, v9, v8 op_sel_hi:[1,1,0]
	v_fma_mix_f32 v8, v40, v9, v8 op_sel:[0,1,0] op_sel_hi:[1,1,0]
	;; [unrolled: 2-line block ×4, first 2 shown]
	v_fma_mixlo_f16 v8, v8, v19, 0 op_sel:[0,1,0] op_sel_hi:[0,1,0]
	v_add_f16_e32 v36, v14, v8
	v_add_co_u32 v8, vcc_lo, v12, s2
	v_add_co_ci_u32_e64 v9, null, s3, v13, vcc_lo
	v_add_co_u32 v20, vcc_lo, v8, s2
	v_add_co_ci_u32_e64 v21, null, s3, v9, vcc_lo
	s_clause 0x1
	global_load_dwordx4 v[12:15], v[8:9], off
	global_load_dwordx4 v[8:11], v[20:21], off
	s_waitcnt vmcnt(1)
	v_sub_nc_u32_sdwa v37, v12, v31 dst_sel:DWORD dst_unused:UNUSED_PAD src0_sel:BYTE_0 src1_sel:DWORD
	v_sub_nc_u32_sdwa v38, v12, v31 dst_sel:DWORD dst_unused:UNUSED_PAD src0_sel:BYTE_1 src1_sel:DWORD
	v_sub_nc_u32_sdwa v40, v12, v31 dst_sel:DWORD dst_unused:UNUSED_PAD src0_sel:BYTE_2 src1_sel:DWORD
	s_waitcnt vmcnt(0)
	v_sub_nc_u32_sdwa v43, v8, v31 dst_sel:DWORD dst_unused:UNUSED_PAD src0_sel:BYTE_2 src1_sel:DWORD
	v_sub_nc_u32_sdwa v12, v12, v31 dst_sel:DWORD dst_unused:UNUSED_PAD src0_sel:BYTE_3 src1_sel:DWORD
	v_cvt_f32_i32_e32 v37, v37
	v_cvt_f32_i32_e32 v38, v38
	v_cvt_f32_i32_e32 v40, v40
	v_cvt_f32_i32_e32 v43, v43
	v_cvt_f32_i32_e32 v12, v12
	v_cvt_f16_f32_e32 v37, v37
	v_cvt_f16_f32_e32 v38, v38
	;; [unrolled: 1-line block ×4, first 2 shown]
	v_sub_nc_u32_sdwa v43, v13, v30 dst_sel:DWORD dst_unused:UNUSED_PAD src0_sel:BYTE_0 src1_sel:DWORD
	v_sub_nc_u32_sdwa v41, v8, v31 dst_sel:DWORD dst_unused:UNUSED_PAD src0_sel:BYTE_0 src1_sel:DWORD
	v_cvt_f16_f32_e32 v12, v12
	v_sub_nc_u32_sdwa v42, v8, v31 dst_sel:DWORD dst_unused:UNUSED_PAD src0_sel:BYTE_1 src1_sel:DWORD
	v_sub_nc_u32_sdwa v8, v8, v31 dst_sel:DWORD dst_unused:UNUSED_PAD src0_sel:BYTE_3 src1_sel:DWORD
	v_cvt_f32_i32_e32 v43, v43
	v_cvt_f32_i32_e32 v41, v41
	;; [unrolled: 1-line block ×4, first 2 shown]
	v_cvt_f16_f32_e32 v46, v43
	v_sub_nc_u32_sdwa v43, v13, v30 dst_sel:DWORD dst_unused:UNUSED_PAD src0_sel:BYTE_1 src1_sel:DWORD
	v_cvt_f16_f32_e32 v41, v41
	v_cvt_f16_f32_e32 v42, v42
	;; [unrolled: 1-line block ×3, first 2 shown]
	v_cvt_f32_i32_e32 v43, v43
	v_cvt_f16_f32_e32 v47, v43
	v_sub_nc_u32_sdwa v43, v13, v30 dst_sel:DWORD dst_unused:UNUSED_PAD src0_sel:BYTE_2 src1_sel:DWORD
	v_sub_nc_u32_sdwa v13, v13, v30 dst_sel:DWORD dst_unused:UNUSED_PAD src0_sel:BYTE_3 src1_sel:DWORD
	v_cvt_f32_i32_e32 v43, v43
	v_cvt_f32_i32_e32 v13, v13
	v_cvt_f16_f32_e32 v48, v43
	v_sub_nc_u32_sdwa v43, v9, v30 dst_sel:DWORD dst_unused:UNUSED_PAD src0_sel:BYTE_0 src1_sel:DWORD
	v_cvt_f16_f32_e32 v13, v13
	v_cvt_f32_i32_e32 v43, v43
	v_cvt_f16_f32_e32 v50, v43
	v_sub_nc_u32_sdwa v43, v9, v30 dst_sel:DWORD dst_unused:UNUSED_PAD src0_sel:BYTE_1 src1_sel:DWORD
	v_cvt_f32_i32_e32 v43, v43
	v_cvt_f16_f32_e32 v51, v43
	v_sub_nc_u32_sdwa v43, v9, v30 dst_sel:DWORD dst_unused:UNUSED_PAD src0_sel:BYTE_2 src1_sel:DWORD
	v_sub_nc_u32_sdwa v9, v9, v30 dst_sel:DWORD dst_unused:UNUSED_PAD src0_sel:BYTE_3 src1_sel:DWORD
	v_cvt_f32_i32_e32 v43, v43
	v_cvt_f32_i32_e32 v9, v9
	v_cvt_f16_f32_e32 v52, v43
	v_sub_nc_u32_sdwa v43, v14, v29 dst_sel:DWORD dst_unused:UNUSED_PAD src0_sel:BYTE_0 src1_sel:DWORD
	v_cvt_f16_f32_e32 v9, v9
	v_cvt_f32_i32_e32 v43, v43
	v_cvt_f16_f32_e32 v53, v43
	v_sub_nc_u32_sdwa v43, v14, v29 dst_sel:DWORD dst_unused:UNUSED_PAD src0_sel:BYTE_1 src1_sel:DWORD
	;; [unrolled: 12-line block ×5, first 2 shown]
	v_cvt_f32_i32_e32 v43, v43
	v_cvt_f16_f32_e32 v99, v43
	v_sub_nc_u32_sdwa v43, v11, v28 dst_sel:DWORD dst_unused:UNUSED_PAD src0_sel:BYTE_2 src1_sel:DWORD
	v_sub_nc_u32_sdwa v11, v11, v28 dst_sel:DWORD dst_unused:UNUSED_PAD src0_sel:BYTE_3 src1_sel:DWORD
	v_cvt_f32_i32_e32 v43, v43
	v_cvt_f32_i32_e32 v11, v11
	v_cvt_f16_f32_e32 v100, v43
	v_cvt_f16_f32_e32 v101, v11
	v_fma_mix_f32 v11, v37, v4, 0 op_sel_hi:[1,1,0]
	v_fma_mix_f32 v11, v38, v4, v11 op_sel:[0,1,0] op_sel_hi:[1,1,0]
	v_fma_mix_f32 v11, v40, v5, v11 op_sel_hi:[1,1,0]
	v_fma_mix_f32 v11, v12, v5, v11 op_sel:[0,1,0] op_sel_hi:[1,1,0]
	v_fma_mix_f32 v11, v41, v6, v11 op_sel_hi:[1,1,0]
	v_fma_mix_f32 v11, v42, v6, v11 op_sel:[0,1,0] op_sel_hi:[1,1,0]
	v_fma_mix_f32 v11, v45, v7, v11 op_sel_hi:[1,1,0]
	v_fma_mix_f32 v11, v8, v7, v11 op_sel:[0,1,0] op_sel_hi:[1,1,0]
	v_fma_mixlo_f16 v11, v11, v18, 0 op_sel_hi:[0,1,0]
	v_add_f16_e32 v102, v35, v11
	v_fma_mix_f32 v11, v46, v4, 0 op_sel_hi:[1,1,0]
	v_fma_mix_f32 v11, v47, v4, v11 op_sel:[0,1,0] op_sel_hi:[1,1,0]
	v_fma_mix_f32 v11, v48, v5, v11 op_sel_hi:[1,1,0]
	v_fma_mix_f32 v11, v13, v5, v11 op_sel:[0,1,0] op_sel_hi:[1,1,0]
	v_fma_mix_f32 v11, v50, v6, v11 op_sel_hi:[1,1,0]
	v_fma_mix_f32 v11, v51, v6, v11 op_sel:[0,1,0] op_sel_hi:[1,1,0]
	v_fma_mix_f32 v11, v52, v7, v11 op_sel_hi:[1,1,0]
	v_fma_mix_f32 v11, v9, v7, v11 op_sel:[0,1,0] op_sel_hi:[1,1,0]
	v_fma_mixlo_f16 v11, v11, v18, 0 op_sel:[0,1,0] op_sel_hi:[0,1,0]
	v_add_f16_e32 v103, v34, v11
	v_fma_mix_f32 v11, v53, v4, 0 op_sel_hi:[1,1,0]
	v_fma_mix_f32 v11, v54, v4, v11 op_sel:[0,1,0] op_sel_hi:[1,1,0]
	v_fma_mix_f32 v11, v55, v5, v11 op_sel_hi:[1,1,0]
	v_fma_mix_f32 v11, v14, v5, v11 op_sel:[0,1,0] op_sel_hi:[1,1,0]
	v_fma_mix_f32 v11, v56, v6, v11 op_sel_hi:[1,1,0]
	v_fma_mix_f32 v11, v57, v6, v11 op_sel:[0,1,0] op_sel_hi:[1,1,0]
	v_fma_mix_f32 v11, v58, v7, v11 op_sel_hi:[1,1,0]
	v_fma_mix_f32 v11, v10, v7, v11 op_sel:[0,1,0] op_sel_hi:[1,1,0]
	v_fma_mixlo_f16 v11, v11, v19, 0 op_sel_hi:[0,1,0]
	v_add_f16_e32 v104, v33, v11
	v_fma_mix_f32 v11, v59, v4, 0 op_sel_hi:[1,1,0]
	v_fma_mix_f32 v4, v60, v4, v11 op_sel:[0,1,0] op_sel_hi:[1,1,0]
	v_fma_mix_f32 v4, v97, v5, v4 op_sel_hi:[1,1,0]
	v_fma_mix_f32 v4, v15, v5, v4 op_sel:[0,1,0] op_sel_hi:[1,1,0]
	v_fma_mix_f32 v4, v98, v6, v4 op_sel_hi:[1,1,0]
	v_fma_mix_f32 v4, v99, v6, v4 op_sel:[0,1,0] op_sel_hi:[1,1,0]
	v_fma_mix_f32 v4, v100, v7, v4 op_sel_hi:[1,1,0]
	v_fma_mix_f32 v4, v101, v7, v4 op_sel:[0,1,0] op_sel_hi:[1,1,0]
	v_fma_mixlo_f16 v4, v4, v19, 0 op_sel:[0,1,0] op_sel_hi:[0,1,0]
	v_add_f16_e32 v105, v32, v4
	ds_read_b128 v[4:7], v27 offset:288
	s_waitcnt lgkmcnt(0)
	v_fma_mix_f32 v11, v37, v4, 0 op_sel_hi:[1,1,0]
	v_fma_mix_f32 v11, v38, v4, v11 op_sel:[0,1,0] op_sel_hi:[1,1,0]
	v_fma_mix_f32 v11, v40, v5, v11 op_sel_hi:[1,1,0]
	v_fma_mix_f32 v11, v12, v5, v11 op_sel:[0,1,0] op_sel_hi:[1,1,0]
	v_fma_mix_f32 v11, v41, v6, v11 op_sel_hi:[1,1,0]
	v_fma_mix_f32 v11, v42, v6, v11 op_sel:[0,1,0] op_sel_hi:[1,1,0]
	v_fma_mix_f32 v11, v45, v7, v11 op_sel_hi:[1,1,0]
	v_fma_mix_f32 v11, v8, v7, v11 op_sel:[0,1,0] op_sel_hi:[1,1,0]
	v_fma_mixlo_f16 v11, v11, v18, 0 op_sel_hi:[0,1,0]
	v_add_f16_e32 v95, v68, v11
	v_fma_mix_f32 v11, v46, v4, 0 op_sel_hi:[1,1,0]
	v_fma_mix_f32 v11, v47, v4, v11 op_sel:[0,1,0] op_sel_hi:[1,1,0]
	v_fma_mix_f32 v11, v48, v5, v11 op_sel_hi:[1,1,0]
	v_fma_mix_f32 v11, v13, v5, v11 op_sel:[0,1,0] op_sel_hi:[1,1,0]
	v_fma_mix_f32 v11, v50, v6, v11 op_sel_hi:[1,1,0]
	v_fma_mix_f32 v11, v51, v6, v11 op_sel:[0,1,0] op_sel_hi:[1,1,0]
	v_fma_mix_f32 v11, v52, v7, v11 op_sel_hi:[1,1,0]
	v_fma_mix_f32 v11, v9, v7, v11 op_sel:[0,1,0] op_sel_hi:[1,1,0]
	v_fma_mixlo_f16 v11, v11, v18, 0 op_sel:[0,1,0] op_sel_hi:[0,1,0]
	v_add_f16_e32 v96, v69, v11
	v_fma_mix_f32 v11, v53, v4, 0 op_sel_hi:[1,1,0]
	v_fma_mix_f32 v11, v54, v4, v11 op_sel:[0,1,0] op_sel_hi:[1,1,0]
	v_fma_mix_f32 v11, v55, v5, v11 op_sel_hi:[1,1,0]
	v_fma_mix_f32 v11, v14, v5, v11 op_sel:[0,1,0] op_sel_hi:[1,1,0]
	v_fma_mix_f32 v11, v56, v6, v11 op_sel_hi:[1,1,0]
	v_fma_mix_f32 v11, v57, v6, v11 op_sel:[0,1,0] op_sel_hi:[1,1,0]
	v_fma_mix_f32 v11, v58, v7, v11 op_sel_hi:[1,1,0]
	v_fma_mix_f32 v11, v10, v7, v11 op_sel:[0,1,0] op_sel_hi:[1,1,0]
	v_fma_mixlo_f16 v11, v11, v19, 0 op_sel_hi:[0,1,0]
	v_add_f16_e32 v93, v70, v11
	v_fma_mix_f32 v11, v59, v4, 0 op_sel_hi:[1,1,0]
	v_fma_mix_f32 v4, v60, v4, v11 op_sel:[0,1,0] op_sel_hi:[1,1,0]
	v_fma_mix_f32 v4, v97, v5, v4 op_sel_hi:[1,1,0]
	v_fma_mix_f32 v4, v15, v5, v4 op_sel:[0,1,0] op_sel_hi:[1,1,0]
	v_fma_mix_f32 v4, v98, v6, v4 op_sel_hi:[1,1,0]
	v_fma_mix_f32 v4, v99, v6, v4 op_sel:[0,1,0] op_sel_hi:[1,1,0]
	v_fma_mix_f32 v4, v100, v7, v4 op_sel_hi:[1,1,0]
	v_fma_mix_f32 v4, v101, v7, v4 op_sel:[0,1,0] op_sel_hi:[1,1,0]
	v_fma_mixlo_f16 v4, v4, v19, 0 op_sel:[0,1,0] op_sel_hi:[0,1,0]
	v_add_f16_e32 v94, v71, v4
	ds_read_b128 v[4:7], v27 offset:544
	s_waitcnt lgkmcnt(0)
	;; [unrolled: 42-line block ×7, first 2 shown]
	v_fma_mix_f32 v4, v37, v76, 0 op_sel_hi:[1,1,0]
	v_fma_mix_f32 v4, v38, v76, v4 op_sel:[0,1,0] op_sel_hi:[1,1,0]
	v_fma_mix_f32 v4, v40, v77, v4 op_sel_hi:[1,1,0]
	v_fma_mix_f32 v4, v12, v77, v4 op_sel:[0,1,0] op_sel_hi:[1,1,0]
	;; [unrolled: 2-line block ×4, first 2 shown]
	v_fma_mixlo_f16 v4, v4, v18, 0 op_sel_hi:[0,1,0]
	v_add_f16_e32 v34, v39, v4
	v_fma_mix_f32 v4, v46, v76, 0 op_sel_hi:[1,1,0]
	v_fma_mix_f32 v4, v47, v76, v4 op_sel:[0,1,0] op_sel_hi:[1,1,0]
	v_fma_mix_f32 v4, v48, v77, v4 op_sel_hi:[1,1,0]
	v_fma_mix_f32 v4, v13, v77, v4 op_sel:[0,1,0] op_sel_hi:[1,1,0]
	;; [unrolled: 2-line block ×4, first 2 shown]
	v_fma_mixlo_f16 v4, v4, v18, 0 op_sel:[0,1,0] op_sel_hi:[0,1,0]
	v_add_f16_e32 v11, v49, v4
	v_fma_mix_f32 v4, v53, v76, 0 op_sel_hi:[1,1,0]
	v_fma_mix_f32 v4, v54, v76, v4 op_sel:[0,1,0] op_sel_hi:[1,1,0]
	v_fma_mix_f32 v4, v55, v77, v4 op_sel_hi:[1,1,0]
	v_fma_mix_f32 v4, v14, v77, v4 op_sel:[0,1,0] op_sel_hi:[1,1,0]
	;; [unrolled: 2-line block ×4, first 2 shown]
	v_fma_mixlo_f16 v4, v4, v19, 0 op_sel_hi:[0,1,0]
	v_add_f16_e32 v7, v44, v4
	v_fma_mix_f32 v4, v59, v76, 0 op_sel_hi:[1,1,0]
	v_fma_mix_f32 v4, v60, v76, v4 op_sel:[0,1,0] op_sel_hi:[1,1,0]
	v_fma_mix_f32 v4, v97, v77, v4 op_sel_hi:[1,1,0]
	v_fma_mix_f32 v4, v15, v77, v4 op_sel:[0,1,0] op_sel_hi:[1,1,0]
	;; [unrolled: 2-line block ×4, first 2 shown]
	v_fma_mixlo_f16 v4, v4, v19, 0 op_sel:[0,1,0] op_sel_hi:[0,1,0]
	v_add_f16_e32 v6, v36, v4
	v_add_co_u32 v4, vcc_lo, v20, s2
	v_add_co_ci_u32_e64 v5, null, s3, v21, vcc_lo
	global_load_dwordx4 v[12:15], v[4:5], off
	v_add_co_u32 v4, vcc_lo, v4, s2
	v_add_co_ci_u32_e64 v5, null, s3, v5, vcc_lo
	global_load_dwordx4 v[76:79], v[4:5], off
	s_waitcnt vmcnt(1)
	v_sub_nc_u32_sdwa v8, v12, v31 dst_sel:DWORD dst_unused:UNUSED_PAD src0_sel:BYTE_0 src1_sel:DWORD
	v_cvt_f32_i32_e32 v8, v8
	v_cvt_f16_f32_e32 v51, v8
	v_sub_nc_u32_sdwa v8, v12, v31 dst_sel:DWORD dst_unused:UNUSED_PAD src0_sel:BYTE_1 src1_sel:DWORD
	v_cvt_f32_i32_e32 v8, v8
	v_cvt_f16_f32_e32 v53, v8
	v_sub_nc_u32_sdwa v8, v12, v31 dst_sel:DWORD dst_unused:UNUSED_PAD src0_sel:BYTE_2 src1_sel:DWORD
	v_cvt_f32_i32_e32 v8, v8
	v_cvt_f16_f32_e32 v55, v8
	v_sub_nc_u32_sdwa v8, v12, v31 dst_sel:DWORD dst_unused:UNUSED_PAD src0_sel:BYTE_3 src1_sel:DWORD
	v_cvt_f32_i32_e32 v8, v8
	v_cvt_f16_f32_e32 v56, v8
	s_waitcnt vmcnt(0)
	v_sub_nc_u32_sdwa v8, v76, v31 dst_sel:DWORD dst_unused:UNUSED_PAD src0_sel:BYTE_0 src1_sel:DWORD
	v_cvt_f32_i32_e32 v8, v8
	v_cvt_f16_f32_e32 v57, v8
	v_sub_nc_u32_sdwa v8, v76, v31 dst_sel:DWORD dst_unused:UNUSED_PAD src0_sel:BYTE_1 src1_sel:DWORD
	v_cvt_f32_i32_e32 v8, v8
	v_cvt_f16_f32_e32 v58, v8
	v_sub_nc_u32_sdwa v8, v76, v31 dst_sel:DWORD dst_unused:UNUSED_PAD src0_sel:BYTE_2 src1_sel:DWORD
	v_cvt_f32_i32_e32 v8, v8
	v_cvt_f16_f32_e32 v59, v8
	v_sub_nc_u32_sdwa v8, v76, v31 dst_sel:DWORD dst_unused:UNUSED_PAD src0_sel:BYTE_3 src1_sel:DWORD
	v_cvt_f32_i32_e32 v8, v8
	v_cvt_f16_f32_e32 v60, v8
	v_sub_nc_u32_sdwa v8, v13, v30 dst_sel:DWORD dst_unused:UNUSED_PAD src0_sel:BYTE_0 src1_sel:DWORD
	v_cvt_f32_i32_e32 v8, v8
	v_cvt_f16_f32_e32 v45, v8
	v_sub_nc_u32_sdwa v8, v13, v30 dst_sel:DWORD dst_unused:UNUSED_PAD src0_sel:BYTE_1 src1_sel:DWORD
	v_cvt_f32_i32_e32 v8, v8
	v_cvt_f16_f32_e32 v46, v8
	v_sub_nc_u32_sdwa v8, v13, v30 dst_sel:DWORD dst_unused:UNUSED_PAD src0_sel:BYTE_2 src1_sel:DWORD
	v_cvt_f32_i32_e32 v8, v8
	v_cvt_f16_f32_e32 v47, v8
	v_sub_nc_u32_sdwa v8, v13, v30 dst_sel:DWORD dst_unused:UNUSED_PAD src0_sel:BYTE_3 src1_sel:DWORD
	v_cvt_f32_i32_e32 v8, v8
	v_cvt_f16_f32_e32 v48, v8
	;; [unrolled: 12-line block ×3, first 2 shown]
	v_sub_nc_u32_sdwa v8, v14, v29 dst_sel:DWORD dst_unused:UNUSED_PAD src0_sel:BYTE_0 src1_sel:DWORD
	v_cvt_f32_i32_e32 v8, v8
	v_cvt_f16_f32_e32 v36, v8
	v_sub_nc_u32_sdwa v8, v14, v29 dst_sel:DWORD dst_unused:UNUSED_PAD src0_sel:BYTE_1 src1_sel:DWORD
	v_cvt_f32_i32_e32 v8, v8
	v_cvt_f16_f32_e32 v37, v8
	v_sub_nc_u32_sdwa v8, v14, v29 dst_sel:DWORD dst_unused:UNUSED_PAD src0_sel:BYTE_2 src1_sel:DWORD
	v_cvt_f32_i32_e32 v8, v8
	v_cvt_f16_f32_e32 v38, v8
	v_sub_nc_u32_sdwa v8, v14, v29 dst_sel:DWORD dst_unused:UNUSED_PAD src0_sel:BYTE_3 src1_sel:DWORD
	v_fma_mix_f32 v14, v51, v0, 0 op_sel_hi:[1,1,0]
	v_cvt_f32_i32_e32 v8, v8
	v_fma_mix_f32 v14, v53, v0, v14 op_sel:[0,1,0] op_sel_hi:[1,1,0]
	v_cvt_f16_f32_e32 v39, v8
	v_sub_nc_u32_sdwa v8, v78, v29 dst_sel:DWORD dst_unused:UNUSED_PAD src0_sel:BYTE_0 src1_sel:DWORD
	v_fma_mix_f32 v14, v55, v1, v14 op_sel_hi:[1,1,0]
	v_cvt_f32_i32_e32 v8, v8
	v_fma_mix_f32 v14, v56, v1, v14 op_sel:[0,1,0] op_sel_hi:[1,1,0]
	v_cvt_f16_f32_e32 v40, v8
	v_sub_nc_u32_sdwa v8, v78, v29 dst_sel:DWORD dst_unused:UNUSED_PAD src0_sel:BYTE_1 src1_sel:DWORD
	v_fma_mix_f32 v14, v57, v2, v14 op_sel_hi:[1,1,0]
	v_cvt_f32_i32_e32 v8, v8
	v_fma_mix_f32 v14, v58, v2, v14 op_sel:[0,1,0] op_sel_hi:[1,1,0]
	v_cvt_f16_f32_e32 v41, v8
	v_sub_nc_u32_sdwa v8, v78, v29 dst_sel:DWORD dst_unused:UNUSED_PAD src0_sel:BYTE_2 src1_sel:DWORD
	v_fma_mix_f32 v14, v59, v3, v14 op_sel_hi:[1,1,0]
	v_cvt_f32_i32_e32 v8, v8
	v_fma_mix_f32 v14, v60, v3, v14 op_sel:[0,1,0] op_sel_hi:[1,1,0]
	v_cvt_f16_f32_e32 v42, v8
	v_sub_nc_u32_sdwa v8, v78, v29 dst_sel:DWORD dst_unused:UNUSED_PAD src0_sel:BYTE_3 src1_sel:DWORD
	v_fma_mixlo_f16 v14, v14, v18, 0 op_sel_hi:[0,1,0]
	v_cvt_f32_i32_e32 v8, v8
	v_add_f16_e32 v14, v102, v14
	v_cvt_f16_f32_e32 v44, v8
	v_sub_nc_u32_sdwa v8, v15, v28 dst_sel:DWORD dst_unused:UNUSED_PAD src0_sel:BYTE_0 src1_sel:DWORD
	v_cvt_f32_i32_e32 v8, v8
	v_cvt_f16_f32_e32 v30, v8
	v_sub_nc_u32_sdwa v8, v15, v28 dst_sel:DWORD dst_unused:UNUSED_PAD src0_sel:BYTE_1 src1_sel:DWORD
	v_fma_mix_f32 v20, v30, v0, 0 op_sel_hi:[1,1,0]
	v_cvt_f32_i32_e32 v8, v8
	v_cvt_f16_f32_e32 v31, v8
	v_sub_nc_u32_sdwa v8, v15, v28 dst_sel:DWORD dst_unused:UNUSED_PAD src0_sel:BYTE_2 src1_sel:DWORD
	v_cvt_f32_i32_e32 v8, v8
	v_cvt_f16_f32_e32 v29, v8
	v_sub_nc_u32_sdwa v8, v15, v28 dst_sel:DWORD dst_unused:UNUSED_PAD src0_sel:BYTE_3 src1_sel:DWORD
	v_fma_mix_f32 v15, v45, v0, 0 op_sel_hi:[1,1,0]
	v_cvt_f32_i32_e32 v8, v8
	v_fma_mix_f32 v15, v46, v0, v15 op_sel:[0,1,0] op_sel_hi:[1,1,0]
	v_cvt_f16_f32_e32 v13, v8
	v_fma_mix_f32 v15, v47, v1, v15 op_sel_hi:[1,1,0]
	v_sub_nc_u32_sdwa v8, v79, v28 dst_sel:DWORD dst_unused:UNUSED_PAD src0_sel:BYTE_0 src1_sel:DWORD
	v_fma_mix_f32 v15, v48, v1, v15 op_sel:[0,1,0] op_sel_hi:[1,1,0]
	v_cvt_f32_i32_e32 v8, v8
	v_fma_mix_f32 v15, v49, v2, v15 op_sel_hi:[1,1,0]
	v_cvt_f16_f32_e32 v12, v8
	v_sub_nc_u32_sdwa v8, v79, v28 dst_sel:DWORD dst_unused:UNUSED_PAD src0_sel:BYTE_1 src1_sel:DWORD
	v_fma_mix_f32 v15, v50, v2, v15 op_sel:[0,1,0] op_sel_hi:[1,1,0]
	v_cvt_f32_i32_e32 v8, v8
	v_fma_mix_f32 v15, v52, v3, v15 op_sel_hi:[1,1,0]
	v_cvt_f16_f32_e32 v10, v8
	v_sub_nc_u32_sdwa v8, v79, v28 dst_sel:DWORD dst_unused:UNUSED_PAD src0_sel:BYTE_2 src1_sel:DWORD
	v_fma_mix_f32 v15, v54, v3, v15 op_sel:[0,1,0] op_sel_hi:[1,1,0]
	v_cvt_f32_i32_e32 v8, v8
	v_fma_mixlo_f16 v15, v15, v18, 0 op_sel:[0,1,0] op_sel_hi:[0,1,0]
	v_cvt_f16_f32_e32 v9, v8
	v_sub_nc_u32_sdwa v8, v79, v28 dst_sel:DWORD dst_unused:UNUSED_PAD src0_sel:BYTE_3 src1_sel:DWORD
	v_add_f16_e32 v15, v103, v15
	v_cvt_f32_i32_e32 v8, v8
	v_pack_b32_f16 v15, v14, v15
	v_fma_mix_f32 v14, v36, v0, 0 op_sel_hi:[1,1,0]
	v_cvt_f16_f32_e32 v8, v8
	v_fma_mix_f32 v14, v37, v0, v14 op_sel:[0,1,0] op_sel_hi:[1,1,0]
	v_fma_mix_f32 v0, v31, v0, v20 op_sel:[0,1,0] op_sel_hi:[1,1,0]
	v_fma_mix_f32 v14, v38, v1, v14 op_sel_hi:[1,1,0]
	v_fma_mix_f32 v0, v29, v1, v0 op_sel_hi:[1,1,0]
	v_fma_mix_f32 v14, v39, v1, v14 op_sel:[0,1,0] op_sel_hi:[1,1,0]
	v_fma_mix_f32 v0, v13, v1, v0 op_sel:[0,1,0] op_sel_hi:[1,1,0]
	v_fma_mix_f32 v14, v40, v2, v14 op_sel_hi:[1,1,0]
	v_fma_mix_f32 v0, v12, v2, v0 op_sel_hi:[1,1,0]
	;; [unrolled: 4-line block ×3, first 2 shown]
	v_fma_mix_f32 v14, v44, v3, v14 op_sel:[0,1,0] op_sel_hi:[1,1,0]
	v_fma_mix_f32 v0, v8, v3, v0 op_sel:[0,1,0] op_sel_hi:[1,1,0]
	v_fma_mixlo_f16 v14, v14, v19, 0 op_sel_hi:[0,1,0]
	v_fma_mixlo_f16 v0, v0, v19, 0 op_sel:[0,1,0] op_sel_hi:[0,1,0]
	v_add_f16_e32 v14, v104, v14
	v_add_f16_e32 v0, v105, v0
	v_pack_b32_f16 v14, v14, v0
	ds_read_b128 v[0:3], v27 offset:304
	s_waitcnt lgkmcnt(0)
	v_fma_mix_f32 v20, v51, v0, 0 op_sel_hi:[1,1,0]
	v_fma_mix_f32 v21, v45, v0, 0 op_sel_hi:[1,1,0]
	;; [unrolled: 1-line block ×3, first 2 shown]
	v_fma_mix_f32 v20, v53, v0, v20 op_sel:[0,1,0] op_sel_hi:[1,1,0]
	v_fma_mix_f32 v21, v46, v0, v21 op_sel:[0,1,0] op_sel_hi:[1,1,0]
	v_fma_mix_f32 v20, v55, v1, v20 op_sel_hi:[1,1,0]
	v_fma_mix_f32 v21, v47, v1, v21 op_sel_hi:[1,1,0]
	v_fma_mix_f32 v20, v56, v1, v20 op_sel:[0,1,0] op_sel_hi:[1,1,0]
	v_fma_mix_f32 v21, v48, v1, v21 op_sel:[0,1,0] op_sel_hi:[1,1,0]
	v_fma_mix_f32 v20, v57, v2, v20 op_sel_hi:[1,1,0]
	v_fma_mix_f32 v21, v49, v2, v21 op_sel_hi:[1,1,0]
	;; [unrolled: 4-line block ×3, first 2 shown]
	v_fma_mix_f32 v20, v60, v3, v20 op_sel:[0,1,0] op_sel_hi:[1,1,0]
	v_fma_mix_f32 v21, v54, v3, v21 op_sel:[0,1,0] op_sel_hi:[1,1,0]
	v_fma_mixlo_f16 v20, v20, v18, 0 op_sel_hi:[0,1,0]
	v_fma_mixlo_f16 v21, v21, v18, 0 op_sel:[0,1,0] op_sel_hi:[0,1,0]
	v_add_f16_e32 v20, v95, v20
	v_add_f16_e32 v21, v96, v21
	v_pack_b32_f16 v21, v20, v21
	v_fma_mix_f32 v20, v36, v0, 0 op_sel_hi:[1,1,0]
	v_fma_mix_f32 v20, v37, v0, v20 op_sel:[0,1,0] op_sel_hi:[1,1,0]
	v_fma_mix_f32 v0, v31, v0, v28 op_sel:[0,1,0] op_sel_hi:[1,1,0]
	v_fma_mix_f32 v20, v38, v1, v20 op_sel_hi:[1,1,0]
	v_fma_mix_f32 v0, v29, v1, v0 op_sel_hi:[1,1,0]
	v_fma_mix_f32 v20, v39, v1, v20 op_sel:[0,1,0] op_sel_hi:[1,1,0]
	v_fma_mix_f32 v0, v13, v1, v0 op_sel:[0,1,0] op_sel_hi:[1,1,0]
	v_fma_mix_f32 v20, v40, v2, v20 op_sel_hi:[1,1,0]
	;; [unrolled: 4-line block ×3, first 2 shown]
	v_fma_mix_f32 v0, v9, v3, v0 op_sel_hi:[1,1,0]
	v_fma_mix_f32 v20, v44, v3, v20 op_sel:[0,1,0] op_sel_hi:[1,1,0]
	v_fma_mix_f32 v0, v8, v3, v0 op_sel:[0,1,0] op_sel_hi:[1,1,0]
	v_fma_mixlo_f16 v20, v20, v19, 0 op_sel_hi:[0,1,0]
	v_fma_mixlo_f16 v0, v0, v19, 0 op_sel:[0,1,0] op_sel_hi:[0,1,0]
	v_add_f16_e32 v20, v93, v20
	v_add_f16_e32 v0, v94, v0
	v_pack_b32_f16 v20, v20, v0
	ds_read_b128 v[0:3], v27 offset:560
	s_waitcnt lgkmcnt(0)
	v_fma_mix_f32 v28, v51, v0, 0 op_sel_hi:[1,1,0]
	v_fma_mix_f32 v28, v53, v0, v28 op_sel:[0,1,0] op_sel_hi:[1,1,0]
	v_fma_mix_f32 v28, v55, v1, v28 op_sel_hi:[1,1,0]
	v_fma_mix_f32 v28, v56, v1, v28 op_sel:[0,1,0] op_sel_hi:[1,1,0]
	v_fma_mix_f32 v28, v57, v2, v28 op_sel_hi:[1,1,0]
	v_fma_mix_f32 v28, v58, v2, v28 op_sel:[0,1,0] op_sel_hi:[1,1,0]
	v_fma_mix_f32 v28, v59, v3, v28 op_sel_hi:[1,1,0]
	v_fma_mix_f32 v28, v60, v3, v28 op_sel:[0,1,0] op_sel_hi:[1,1,0]
	v_fma_mixlo_f16 v28, v28, v18, 0 op_sel_hi:[0,1,0]
	v_add_f16_e32 v28, v33, v28
	v_fma_mix_f32 v33, v45, v0, 0 op_sel_hi:[1,1,0]
	v_fma_mix_f32 v33, v46, v0, v33 op_sel:[0,1,0] op_sel_hi:[1,1,0]
	v_fma_mix_f32 v33, v47, v1, v33 op_sel_hi:[1,1,0]
	v_fma_mix_f32 v33, v48, v1, v33 op_sel:[0,1,0] op_sel_hi:[1,1,0]
	v_fma_mix_f32 v33, v49, v2, v33 op_sel_hi:[1,1,0]
	v_fma_mix_f32 v33, v50, v2, v33 op_sel:[0,1,0] op_sel_hi:[1,1,0]
	v_fma_mix_f32 v33, v52, v3, v33 op_sel_hi:[1,1,0]
	v_fma_mix_f32 v33, v54, v3, v33 op_sel:[0,1,0] op_sel_hi:[1,1,0]
	v_fma_mixlo_f16 v33, v33, v18, 0 op_sel:[0,1,0] op_sel_hi:[0,1,0]
	v_add_f16_e32 v33, v92, v33
	v_pack_b32_f16 v33, v28, v33
	v_fma_mix_f32 v28, v36, v0, 0 op_sel_hi:[1,1,0]
	v_fma_mix_f32 v28, v37, v0, v28 op_sel:[0,1,0] op_sel_hi:[1,1,0]
	v_fma_mix_f32 v28, v38, v1, v28 op_sel_hi:[1,1,0]
	v_fma_mix_f32 v28, v39, v1, v28 op_sel:[0,1,0] op_sel_hi:[1,1,0]
	v_fma_mix_f32 v28, v40, v2, v28 op_sel_hi:[1,1,0]
	v_fma_mix_f32 v28, v41, v2, v28 op_sel:[0,1,0] op_sel_hi:[1,1,0]
	v_fma_mix_f32 v28, v42, v3, v28 op_sel_hi:[1,1,0]
	v_fma_mix_f32 v28, v44, v3, v28 op_sel:[0,1,0] op_sel_hi:[1,1,0]
	v_fma_mixlo_f16 v28, v28, v19, 0 op_sel_hi:[0,1,0]
	v_add_f16_e32 v28, v32, v28
	v_fma_mix_f32 v32, v30, v0, 0 op_sel_hi:[1,1,0]
	v_fma_mix_f32 v0, v31, v0, v32 op_sel:[0,1,0] op_sel_hi:[1,1,0]
	v_fma_mix_f32 v0, v29, v1, v0 op_sel_hi:[1,1,0]
	v_fma_mix_f32 v0, v13, v1, v0 op_sel:[0,1,0] op_sel_hi:[1,1,0]
	v_fma_mix_f32 v0, v12, v2, v0 op_sel_hi:[1,1,0]
	v_fma_mix_f32 v0, v10, v2, v0 op_sel:[0,1,0] op_sel_hi:[1,1,0]
	v_fma_mix_f32 v0, v9, v3, v0 op_sel_hi:[1,1,0]
	v_fma_mix_f32 v0, v8, v3, v0 op_sel:[0,1,0] op_sel_hi:[1,1,0]
	v_fma_mixlo_f16 v0, v0, v19, 0 op_sel:[0,1,0] op_sel_hi:[0,1,0]
	v_add_f16_e32 v0, v75, v0
	v_pack_b32_f16 v32, v28, v0
	ds_read_b128 v[0:3], v27 offset:816
	s_waitcnt lgkmcnt(0)
	v_fma_mix_f32 v28, v51, v0, 0 op_sel_hi:[1,1,0]
	v_fma_mix_f32 v28, v53, v0, v28 op_sel:[0,1,0] op_sel_hi:[1,1,0]
	v_fma_mix_f32 v28, v55, v1, v28 op_sel_hi:[1,1,0]
	v_fma_mix_f32 v28, v56, v1, v28 op_sel:[0,1,0] op_sel_hi:[1,1,0]
	v_fma_mix_f32 v28, v57, v2, v28 op_sel_hi:[1,1,0]
	v_fma_mix_f32 v28, v58, v2, v28 op_sel:[0,1,0] op_sel_hi:[1,1,0]
	v_fma_mix_f32 v28, v59, v3, v28 op_sel_hi:[1,1,0]
	v_fma_mix_f32 v28, v60, v3, v28 op_sel:[0,1,0] op_sel_hi:[1,1,0]
	v_fma_mixlo_f16 v28, v28, v18, 0 op_sel_hi:[0,1,0]
	v_add_f16_e32 v28, v43, v28
	v_fma_mix_f32 v43, v45, v0, 0 op_sel_hi:[1,1,0]
	v_fma_mix_f32 v43, v46, v0, v43 op_sel:[0,1,0] op_sel_hi:[1,1,0]
	v_fma_mix_f32 v43, v47, v1, v43 op_sel_hi:[1,1,0]
	v_fma_mix_f32 v43, v48, v1, v43 op_sel:[0,1,0] op_sel_hi:[1,1,0]
	v_fma_mix_f32 v43, v49, v2, v43 op_sel_hi:[1,1,0]
	v_fma_mix_f32 v43, v50, v2, v43 op_sel:[0,1,0] op_sel_hi:[1,1,0]
	v_fma_mix_f32 v43, v52, v3, v43 op_sel_hi:[1,1,0]
	v_fma_mix_f32 v43, v54, v3, v43 op_sel:[0,1,0] op_sel_hi:[1,1,0]
	v_fma_mixlo_f16 v43, v43, v18, 0 op_sel:[0,1,0] op_sel_hi:[0,1,0]
	v_add_f16_e32 v43, v74, v43
	v_pack_b32_f16 v43, v28, v43
	v_fma_mix_f32 v28, v36, v0, 0 op_sel_hi:[1,1,0]
	v_fma_mix_f32 v28, v37, v0, v28 op_sel:[0,1,0] op_sel_hi:[1,1,0]
	v_fma_mix_f32 v28, v38, v1, v28 op_sel_hi:[1,1,0]
	v_fma_mix_f32 v28, v39, v1, v28 op_sel:[0,1,0] op_sel_hi:[1,1,0]
	v_fma_mix_f32 v28, v40, v2, v28 op_sel_hi:[1,1,0]
	v_fma_mix_f32 v28, v41, v2, v28 op_sel:[0,1,0] op_sel_hi:[1,1,0]
	v_fma_mix_f32 v28, v42, v3, v28 op_sel_hi:[1,1,0]
	v_fma_mix_f32 v28, v44, v3, v28 op_sel:[0,1,0] op_sel_hi:[1,1,0]
	v_fma_mixlo_f16 v28, v28, v19, 0 op_sel_hi:[0,1,0]
	v_add_f16_e32 v28, v35, v28
	v_fma_mix_f32 v35, v30, v0, 0 op_sel_hi:[1,1,0]
	v_fma_mix_f32 v0, v31, v0, v35 op_sel:[0,1,0] op_sel_hi:[1,1,0]
	v_fma_mix_f32 v0, v29, v1, v0 op_sel_hi:[1,1,0]
	v_fma_mix_f32 v0, v13, v1, v0 op_sel:[0,1,0] op_sel_hi:[1,1,0]
	v_fma_mix_f32 v0, v12, v2, v0 op_sel_hi:[1,1,0]
	v_fma_mix_f32 v0, v10, v2, v0 op_sel:[0,1,0] op_sel_hi:[1,1,0]
	v_fma_mix_f32 v0, v9, v3, v0 op_sel_hi:[1,1,0]
	v_fma_mix_f32 v0, v8, v3, v0 op_sel:[0,1,0] op_sel_hi:[1,1,0]
	v_fma_mixlo_f16 v0, v0, v19, 0 op_sel:[0,1,0] op_sel_hi:[0,1,0]
	v_add_f16_e32 v0, v73, v0
	v_pack_b32_f16 v35, v28, v0
	ds_read_b128 v[0:3], v27 offset:1072
	s_waitcnt lgkmcnt(0)
	v_fma_mix_f32 v28, v51, v0, 0 op_sel_hi:[1,1,0]
	v_fma_mix_f32 v28, v53, v0, v28 op_sel:[0,1,0] op_sel_hi:[1,1,0]
	v_fma_mix_f32 v28, v55, v1, v28 op_sel_hi:[1,1,0]
	v_fma_mix_f32 v28, v56, v1, v28 op_sel:[0,1,0] op_sel_hi:[1,1,0]
	v_fma_mix_f32 v28, v57, v2, v28 op_sel_hi:[1,1,0]
	v_fma_mix_f32 v28, v58, v2, v28 op_sel:[0,1,0] op_sel_hi:[1,1,0]
	v_fma_mix_f32 v28, v59, v3, v28 op_sel_hi:[1,1,0]
	v_fma_mix_f32 v28, v60, v3, v28 op_sel:[0,1,0] op_sel_hi:[1,1,0]
	v_fma_mixlo_f16 v28, v28, v18, 0 op_sel_hi:[0,1,0]
	v_add_f16_e32 v28, v62, v28
	v_fma_mix_f32 v62, v45, v0, 0 op_sel_hi:[1,1,0]
	v_fma_mix_f32 v62, v46, v0, v62 op_sel:[0,1,0] op_sel_hi:[1,1,0]
	v_fma_mix_f32 v62, v47, v1, v62 op_sel_hi:[1,1,0]
	v_fma_mix_f32 v62, v48, v1, v62 op_sel:[0,1,0] op_sel_hi:[1,1,0]
	v_fma_mix_f32 v62, v49, v2, v62 op_sel_hi:[1,1,0]
	v_fma_mix_f32 v62, v50, v2, v62 op_sel:[0,1,0] op_sel_hi:[1,1,0]
	v_fma_mix_f32 v62, v52, v3, v62 op_sel_hi:[1,1,0]
	v_fma_mix_f32 v62, v54, v3, v62 op_sel:[0,1,0] op_sel_hi:[1,1,0]
	v_fma_mixlo_f16 v62, v62, v18, 0 op_sel:[0,1,0] op_sel_hi:[0,1,0]
	v_add_f16_e32 v62, v72, v62
	v_pack_b32_f16 v62, v28, v62
	v_fma_mix_f32 v28, v36, v0, 0 op_sel_hi:[1,1,0]
	v_fma_mix_f32 v28, v37, v0, v28 op_sel:[0,1,0] op_sel_hi:[1,1,0]
	v_fma_mix_f32 v28, v38, v1, v28 op_sel_hi:[1,1,0]
	v_fma_mix_f32 v28, v39, v1, v28 op_sel:[0,1,0] op_sel_hi:[1,1,0]
	v_fma_mix_f32 v28, v40, v2, v28 op_sel_hi:[1,1,0]
	v_fma_mix_f32 v28, v41, v2, v28 op_sel:[0,1,0] op_sel_hi:[1,1,0]
	v_fma_mix_f32 v28, v42, v3, v28 op_sel_hi:[1,1,0]
	v_fma_mix_f32 v28, v44, v3, v28 op_sel:[0,1,0] op_sel_hi:[1,1,0]
	v_fma_mixlo_f16 v28, v28, v19, 0 op_sel_hi:[0,1,0]
	v_add_f16_e32 v28, v61, v28
	v_fma_mix_f32 v61, v30, v0, 0 op_sel_hi:[1,1,0]
	v_fma_mix_f32 v0, v31, v0, v61 op_sel:[0,1,0] op_sel_hi:[1,1,0]
	v_fma_mix_f32 v0, v29, v1, v0 op_sel_hi:[1,1,0]
	v_fma_mix_f32 v0, v13, v1, v0 op_sel:[0,1,0] op_sel_hi:[1,1,0]
	v_fma_mix_f32 v0, v12, v2, v0 op_sel_hi:[1,1,0]
	v_fma_mix_f32 v0, v10, v2, v0 op_sel:[0,1,0] op_sel_hi:[1,1,0]
	v_fma_mix_f32 v0, v9, v3, v0 op_sel_hi:[1,1,0]
	v_fma_mix_f32 v0, v8, v3, v0 op_sel:[0,1,0] op_sel_hi:[1,1,0]
	v_fma_mixlo_f16 v0, v0, v19, 0 op_sel:[0,1,0] op_sel_hi:[0,1,0]
	v_add_f16_e32 v0, v71, v0
	v_pack_b32_f16 v61, v28, v0
	ds_read_b128 v[0:3], v27 offset:1328
	s_waitcnt lgkmcnt(0)
	v_fma_mix_f32 v28, v51, v0, 0 op_sel_hi:[1,1,0]
	v_fma_mix_f32 v28, v53, v0, v28 op_sel:[0,1,0] op_sel_hi:[1,1,0]
	v_fma_mix_f32 v28, v55, v1, v28 op_sel_hi:[1,1,0]
	v_fma_mix_f32 v28, v56, v1, v28 op_sel:[0,1,0] op_sel_hi:[1,1,0]
	v_fma_mix_f32 v28, v57, v2, v28 op_sel_hi:[1,1,0]
	v_fma_mix_f32 v28, v58, v2, v28 op_sel:[0,1,0] op_sel_hi:[1,1,0]
	v_fma_mix_f32 v28, v59, v3, v28 op_sel_hi:[1,1,0]
	v_fma_mix_f32 v28, v60, v3, v28 op_sel:[0,1,0] op_sel_hi:[1,1,0]
	v_fma_mixlo_f16 v28, v28, v18, 0 op_sel_hi:[0,1,0]
	v_add_f16_e32 v28, v64, v28
	v_fma_mix_f32 v64, v45, v0, 0 op_sel_hi:[1,1,0]
	v_fma_mix_f32 v64, v46, v0, v64 op_sel:[0,1,0] op_sel_hi:[1,1,0]
	v_fma_mix_f32 v64, v47, v1, v64 op_sel_hi:[1,1,0]
	v_fma_mix_f32 v64, v48, v1, v64 op_sel:[0,1,0] op_sel_hi:[1,1,0]
	v_fma_mix_f32 v64, v49, v2, v64 op_sel_hi:[1,1,0]
	v_fma_mix_f32 v64, v50, v2, v64 op_sel:[0,1,0] op_sel_hi:[1,1,0]
	v_fma_mix_f32 v64, v52, v3, v64 op_sel_hi:[1,1,0]
	v_fma_mix_f32 v64, v54, v3, v64 op_sel:[0,1,0] op_sel_hi:[1,1,0]
	v_fma_mixlo_f16 v64, v64, v18, 0 op_sel:[0,1,0] op_sel_hi:[0,1,0]
	v_add_f16_e32 v64, v70, v64
	v_pack_b32_f16 v64, v28, v64
	v_fma_mix_f32 v28, v36, v0, 0 op_sel_hi:[1,1,0]
	v_fma_mix_f32 v28, v37, v0, v28 op_sel:[0,1,0] op_sel_hi:[1,1,0]
	v_fma_mix_f32 v28, v38, v1, v28 op_sel_hi:[1,1,0]
	v_fma_mix_f32 v28, v39, v1, v28 op_sel:[0,1,0] op_sel_hi:[1,1,0]
	v_fma_mix_f32 v28, v40, v2, v28 op_sel_hi:[1,1,0]
	v_fma_mix_f32 v28, v41, v2, v28 op_sel:[0,1,0] op_sel_hi:[1,1,0]
	v_fma_mix_f32 v28, v42, v3, v28 op_sel_hi:[1,1,0]
	v_fma_mix_f32 v28, v44, v3, v28 op_sel:[0,1,0] op_sel_hi:[1,1,0]
	v_fma_mixlo_f16 v28, v28, v19, 0 op_sel_hi:[0,1,0]
	v_add_f16_e32 v28, v63, v28
	v_fma_mix_f32 v63, v30, v0, 0 op_sel_hi:[1,1,0]
	v_fma_mix_f32 v0, v31, v0, v63 op_sel:[0,1,0] op_sel_hi:[1,1,0]
	v_fma_mix_f32 v0, v29, v1, v0 op_sel_hi:[1,1,0]
	v_fma_mix_f32 v0, v13, v1, v0 op_sel:[0,1,0] op_sel_hi:[1,1,0]
	v_fma_mix_f32 v0, v12, v2, v0 op_sel_hi:[1,1,0]
	v_fma_mix_f32 v0, v10, v2, v0 op_sel:[0,1,0] op_sel_hi:[1,1,0]
	v_fma_mix_f32 v0, v9, v3, v0 op_sel_hi:[1,1,0]
	v_fma_mix_f32 v0, v8, v3, v0 op_sel:[0,1,0] op_sel_hi:[1,1,0]
	v_fma_mixlo_f16 v0, v0, v19, 0 op_sel:[0,1,0] op_sel_hi:[0,1,0]
	v_add_f16_e32 v0, v69, v0
	v_pack_b32_f16 v63, v28, v0
	ds_read_b128 v[0:3], v27 offset:1584
	s_waitcnt lgkmcnt(0)
	v_fma_mix_f32 v28, v51, v0, 0 op_sel_hi:[1,1,0]
	v_fma_mix_f32 v28, v53, v0, v28 op_sel:[0,1,0] op_sel_hi:[1,1,0]
	v_fma_mix_f32 v28, v55, v1, v28 op_sel_hi:[1,1,0]
	v_fma_mix_f32 v28, v56, v1, v28 op_sel:[0,1,0] op_sel_hi:[1,1,0]
	v_fma_mix_f32 v28, v57, v2, v28 op_sel_hi:[1,1,0]
	v_fma_mix_f32 v28, v58, v2, v28 op_sel:[0,1,0] op_sel_hi:[1,1,0]
	v_fma_mix_f32 v28, v59, v3, v28 op_sel_hi:[1,1,0]
	v_fma_mix_f32 v28, v60, v3, v28 op_sel:[0,1,0] op_sel_hi:[1,1,0]
	v_fma_mixlo_f16 v28, v28, v18, 0 op_sel_hi:[0,1,0]
	v_add_f16_e32 v28, v66, v28
	v_fma_mix_f32 v66, v45, v0, 0 op_sel_hi:[1,1,0]
	v_fma_mix_f32 v66, v46, v0, v66 op_sel:[0,1,0] op_sel_hi:[1,1,0]
	v_fma_mix_f32 v66, v47, v1, v66 op_sel_hi:[1,1,0]
	v_fma_mix_f32 v66, v48, v1, v66 op_sel:[0,1,0] op_sel_hi:[1,1,0]
	v_fma_mix_f32 v66, v49, v2, v66 op_sel_hi:[1,1,0]
	v_fma_mix_f32 v66, v50, v2, v66 op_sel:[0,1,0] op_sel_hi:[1,1,0]
	v_fma_mix_f32 v66, v52, v3, v66 op_sel_hi:[1,1,0]
	v_fma_mix_f32 v66, v54, v3, v66 op_sel:[0,1,0] op_sel_hi:[1,1,0]
	v_fma_mixlo_f16 v66, v66, v18, 0 op_sel:[0,1,0] op_sel_hi:[0,1,0]
	v_add_f16_e32 v66, v68, v66
	v_pack_b32_f16 v66, v28, v66
	v_fma_mix_f32 v28, v36, v0, 0 op_sel_hi:[1,1,0]
	v_fma_mix_f32 v28, v37, v0, v28 op_sel:[0,1,0] op_sel_hi:[1,1,0]
	v_fma_mix_f32 v28, v38, v1, v28 op_sel_hi:[1,1,0]
	v_fma_mix_f32 v28, v39, v1, v28 op_sel:[0,1,0] op_sel_hi:[1,1,0]
	v_fma_mix_f32 v28, v40, v2, v28 op_sel_hi:[1,1,0]
	v_fma_mix_f32 v28, v41, v2, v28 op_sel:[0,1,0] op_sel_hi:[1,1,0]
	v_fma_mix_f32 v28, v42, v3, v28 op_sel_hi:[1,1,0]
	v_fma_mix_f32 v28, v44, v3, v28 op_sel:[0,1,0] op_sel_hi:[1,1,0]
	v_fma_mixlo_f16 v28, v28, v19, 0 op_sel_hi:[0,1,0]
	v_add_f16_e32 v28, v65, v28
	v_fma_mix_f32 v65, v30, v0, 0 op_sel_hi:[1,1,0]
	v_fma_mix_f32 v0, v31, v0, v65 op_sel:[0,1,0] op_sel_hi:[1,1,0]
	v_fma_mix_f32 v0, v29, v1, v0 op_sel_hi:[1,1,0]
	v_fma_mix_f32 v0, v13, v1, v0 op_sel:[0,1,0] op_sel_hi:[1,1,0]
	v_fma_mix_f32 v0, v12, v2, v0 op_sel_hi:[1,1,0]
	v_fma_mix_f32 v0, v10, v2, v0 op_sel:[0,1,0] op_sel_hi:[1,1,0]
	v_fma_mix_f32 v0, v9, v3, v0 op_sel_hi:[1,1,0]
	v_fma_mix_f32 v0, v8, v3, v0 op_sel:[0,1,0] op_sel_hi:[1,1,0]
	v_fma_mixlo_f16 v0, v0, v19, 0 op_sel:[0,1,0] op_sel_hi:[0,1,0]
	v_add_f16_e32 v0, v67, v0
	v_pack_b32_f16 v65, v28, v0
	ds_read_b128 v[0:3], v27 offset:1840
	s_waitcnt lgkmcnt(0)
	v_fma_mix_f32 v27, v51, v0, 0 op_sel_hi:[1,1,0]
	v_fma_mix_f32 v28, v45, v0, 0 op_sel_hi:[1,1,0]
	v_fma_mix_f32 v27, v53, v0, v27 op_sel:[0,1,0] op_sel_hi:[1,1,0]
	v_fma_mix_f32 v28, v46, v0, v28 op_sel:[0,1,0] op_sel_hi:[1,1,0]
	v_fma_mix_f32 v27, v55, v1, v27 op_sel_hi:[1,1,0]
	v_fma_mix_f32 v28, v47, v1, v28 op_sel_hi:[1,1,0]
	v_fma_mix_f32 v27, v56, v1, v27 op_sel:[0,1,0] op_sel_hi:[1,1,0]
	v_fma_mix_f32 v28, v48, v1, v28 op_sel:[0,1,0] op_sel_hi:[1,1,0]
	;; [unrolled: 4-line block ×4, first 2 shown]
	v_fma_mixlo_f16 v27, v27, v18, 0 op_sel_hi:[0,1,0]
	v_fma_mixlo_f16 v28, v28, v18, 0 op_sel:[0,1,0] op_sel_hi:[0,1,0]
	v_add_f16_e32 v27, v34, v27
	v_add_f16_e32 v11, v11, v28
	v_pack_b32_f16 v34, v27, v11
	v_fma_mix_f32 v11, v36, v0, 0 op_sel_hi:[1,1,0]
	v_fma_mix_f32 v11, v37, v0, v11 op_sel:[0,1,0] op_sel_hi:[1,1,0]
	v_fma_mix_f32 v11, v38, v1, v11 op_sel_hi:[1,1,0]
	v_fma_mix_f32 v11, v39, v1, v11 op_sel:[0,1,0] op_sel_hi:[1,1,0]
	v_fma_mix_f32 v11, v40, v2, v11 op_sel_hi:[1,1,0]
	v_fma_mix_f32 v11, v41, v2, v11 op_sel:[0,1,0] op_sel_hi:[1,1,0]
	v_fma_mix_f32 v11, v42, v3, v11 op_sel_hi:[1,1,0]
	v_fma_mix_f32 v11, v44, v3, v11 op_sel:[0,1,0] op_sel_hi:[1,1,0]
	v_fma_mixlo_f16 v11, v11, v19, 0 op_sel_hi:[0,1,0]
	v_add_f16_e32 v7, v7, v11
	v_fma_mix_f32 v11, v30, v0, 0 op_sel_hi:[1,1,0]
	v_fma_mix_f32 v0, v31, v0, v11 op_sel:[0,1,0] op_sel_hi:[1,1,0]
	v_fma_mix_f32 v0, v29, v1, v0 op_sel_hi:[1,1,0]
	v_fma_mix_f32 v0, v13, v1, v0 op_sel:[0,1,0] op_sel_hi:[1,1,0]
	;; [unrolled: 2-line block ×4, first 2 shown]
	v_fma_mixlo_f16 v0, v0, v19, 0 op_sel:[0,1,0] op_sel_hi:[0,1,0]
	v_add_f16_e32 v0, v6, v0
	v_pack_b32_f16 v36, v7, v0
	v_add_co_u32 v0, vcc_lo, v4, s2
	v_add_co_ci_u32_e64 v1, null, s3, v5, vcc_lo
	s_cbranch_scc1 .LBB46_24
.LBB46_22:                              ; =>This Inner Loop Header: Depth=1
	s_cmp_lg_u32 s18, s8
	s_cbranch_scc1 .LBB46_21
; %bb.23:                               ;   in Loop: Header=BB46_22 Depth=1
	s_add_i32 s6, s6, 1
	s_add_i32 s8, s8, s5
	s_mul_i32 s1, s6, s0
	s_ashr_i32 s9, s1, 31
	v_add_nc_u32_e32 v4, s1, v16
	s_lshr_b32 s9, s9, 30
	s_add_i32 s9, s1, s9
	v_ashrrev_i32_e32 v5, 31, v4
	s_ashr_i32 s9, s9, 2
	v_add_nc_u32_e32 v2, s9, v22
	v_lshlrev_b64 v[4:5], 1, v[4:5]
	v_ashrrev_i32_e32 v3, 31, v2
	v_lshlrev_b64 v[2:3], 2, v[2:3]
	v_add_co_u32 v2, vcc_lo, s10, v2
	v_add_co_ci_u32_e64 v3, null, s11, v3, vcc_lo
	global_load_dword v6, v[2:3], off
	v_add_co_u32 v2, vcc_lo, s12, v4
	v_add_co_ci_u32_e64 v3, null, s13, v5, vcc_lo
	global_load_dwordx2 v[18:19], v[2:3], off
	s_waitcnt vmcnt(1)
	v_and_b32_e32 v23, 0xff, v6
	v_bfe_u32 v24, v6, 8, 8
	v_bfe_u32 v25, v6, 16, 8
	v_lshrrev_b32_e32 v26, 24, v6
	s_branch .LBB46_21
.LBB46_24:
	v_mad_u64_u32 v[0:1], null, s7, s0, v[16:17]
	s_mov_b32 s1, 0
	v_ashrrev_i32_e32 v1, 31, v0
	v_lshlrev_b64 v[1:2], 1, v[0:1]
	v_add_co_u32 v1, vcc_lo, s14, v1
	v_add_co_ci_u32_e64 v2, null, s15, v2, vcc_lo
	global_load_dword v4, v[1:2], off
.LBB46_25:                              ; =>This Inner Loop Header: Depth=1
	s_waitcnt vmcnt(0)
	v_pk_add_f16 v3, v15, v4
	global_atomic_cmpswap v3, v[1:2], v[3:4], off glc
	s_waitcnt vmcnt(0)
	v_cmp_eq_u32_e32 vcc_lo, v4, v3
	v_mov_b32_e32 v4, v3
	s_or_b32 s1, vcc_lo, s1
	s_andn2_b32 exec_lo, exec_lo, s1
	s_cbranch_execnz .LBB46_25
; %bb.26:
	s_or_b32 exec_lo, exec_lo, s1
	global_load_dword v4, v[1:2], off offset:4
	s_mov_b32 s1, 0
.LBB46_27:                              ; =>This Inner Loop Header: Depth=1
	s_waitcnt vmcnt(0)
	v_pk_add_f16 v3, v14, v4
	global_atomic_cmpswap v3, v[1:2], v[3:4], off offset:4 glc
	s_waitcnt vmcnt(0)
	v_cmp_eq_u32_e32 vcc_lo, v4, v3
	v_mov_b32_e32 v4, v3
	s_or_b32 s1, vcc_lo, s1
	s_andn2_b32 exec_lo, exec_lo, s1
	s_cbranch_execnz .LBB46_27
; %bb.28:
	s_or_b32 exec_lo, exec_lo, s1
	v_add_nc_u32_e32 v0, s0, v0
	s_mov_b32 s1, 0
	v_ashrrev_i32_e32 v1, 31, v0
	v_lshlrev_b64 v[1:2], 1, v[0:1]
	v_add_co_u32 v1, vcc_lo, s14, v1
	v_add_co_ci_u32_e64 v2, null, s15, v2, vcc_lo
	global_load_dword v4, v[1:2], off
.LBB46_29:                              ; =>This Inner Loop Header: Depth=1
	s_waitcnt vmcnt(0)
	v_pk_add_f16 v3, v21, v4
	global_atomic_cmpswap v3, v[1:2], v[3:4], off glc
	s_waitcnt vmcnt(0)
	v_cmp_eq_u32_e32 vcc_lo, v4, v3
	v_mov_b32_e32 v4, v3
	s_or_b32 s1, vcc_lo, s1
	s_andn2_b32 exec_lo, exec_lo, s1
	s_cbranch_execnz .LBB46_29
; %bb.30:
	s_or_b32 exec_lo, exec_lo, s1
	global_load_dword v4, v[1:2], off offset:4
	s_mov_b32 s1, 0
.LBB46_31:                              ; =>This Inner Loop Header: Depth=1
	s_waitcnt vmcnt(0)
	v_pk_add_f16 v3, v20, v4
	global_atomic_cmpswap v3, v[1:2], v[3:4], off offset:4 glc
	s_waitcnt vmcnt(0)
	v_cmp_eq_u32_e32 vcc_lo, v4, v3
	v_mov_b32_e32 v4, v3
	s_or_b32 s1, vcc_lo, s1
	s_andn2_b32 exec_lo, exec_lo, s1
	s_cbranch_execnz .LBB46_31
; %bb.32:
	s_or_b32 exec_lo, exec_lo, s1
	v_add_nc_u32_e32 v0, s0, v0
	;; [unrolled: 33-line block ×7, first 2 shown]
	s_mov_b32 s0, 0
	v_ashrrev_i32_e32 v1, 31, v0
	v_lshlrev_b64 v[0:1], 1, v[0:1]
	v_add_co_u32 v0, vcc_lo, s14, v0
	v_add_co_ci_u32_e64 v1, null, s15, v1, vcc_lo
	global_load_dword v3, v[0:1], off
.LBB46_53:                              ; =>This Inner Loop Header: Depth=1
	s_waitcnt vmcnt(0)
	v_pk_add_f16 v2, v34, v3
	global_atomic_cmpswap v2, v[0:1], v[2:3], off glc
	s_waitcnt vmcnt(0)
	v_cmp_eq_u32_e32 vcc_lo, v3, v2
	v_mov_b32_e32 v3, v2
	s_or_b32 s0, vcc_lo, s0
	s_andn2_b32 exec_lo, exec_lo, s0
	s_cbranch_execnz .LBB46_53
; %bb.54:
	s_or_b32 exec_lo, exec_lo, s0
	global_load_dword v3, v[0:1], off offset:4
	s_mov_b32 s0, 0
.LBB46_55:                              ; =>This Inner Loop Header: Depth=1
	s_waitcnt vmcnt(0)
	v_pk_add_f16 v2, v36, v3
	global_atomic_cmpswap v2, v[0:1], v[2:3], off offset:4 glc
	s_waitcnt vmcnt(0)
	v_cmp_eq_u32_e32 vcc_lo, v3, v2
	v_mov_b32_e32 v3, v2
	s_or_b32 s0, vcc_lo, s0
	s_andn2_b32 exec_lo, exec_lo, s0
	s_cbranch_execnz .LBB46_55
.LBB46_56:
	s_endpgm
	.section	.rodata,"a",@progbits
	.p2align	6, 0x0
	.amdhsa_kernel _ZN4vllm4gptq33gemm_half_q_half_gptq_8bit_kernelILb1ELi8EEEvPK6__halfPKjS6_S4_PS2_iiiibPKi
		.amdhsa_group_segment_fixed_size 2048
		.amdhsa_private_segment_fixed_size 0
		.amdhsa_kernarg_size 72
		.amdhsa_user_sgpr_count 6
		.amdhsa_user_sgpr_private_segment_buffer 1
		.amdhsa_user_sgpr_dispatch_ptr 0
		.amdhsa_user_sgpr_queue_ptr 0
		.amdhsa_user_sgpr_kernarg_segment_ptr 1
		.amdhsa_user_sgpr_dispatch_id 0
		.amdhsa_user_sgpr_flat_scratch_init 0
		.amdhsa_user_sgpr_private_segment_size 0
		.amdhsa_wavefront_size32 1
		.amdhsa_uses_dynamic_stack 0
		.amdhsa_system_sgpr_private_segment_wavefront_offset 0
		.amdhsa_system_sgpr_workgroup_id_x 1
		.amdhsa_system_sgpr_workgroup_id_y 1
		.amdhsa_system_sgpr_workgroup_id_z 1
		.amdhsa_system_sgpr_workgroup_info 0
		.amdhsa_system_vgpr_workitem_id 0
		.amdhsa_next_free_vgpr 106
		.amdhsa_next_free_sgpr 24
		.amdhsa_reserve_vcc 1
		.amdhsa_reserve_flat_scratch 0
		.amdhsa_float_round_mode_32 0
		.amdhsa_float_round_mode_16_64 0
		.amdhsa_float_denorm_mode_32 3
		.amdhsa_float_denorm_mode_16_64 3
		.amdhsa_dx10_clamp 1
		.amdhsa_ieee_mode 1
		.amdhsa_fp16_overflow 0
		.amdhsa_workgroup_processor_mode 1
		.amdhsa_memory_ordered 1
		.amdhsa_forward_progress 1
		.amdhsa_shared_vgpr_count 0
		.amdhsa_exception_fp_ieee_invalid_op 0
		.amdhsa_exception_fp_denorm_src 0
		.amdhsa_exception_fp_ieee_div_zero 0
		.amdhsa_exception_fp_ieee_overflow 0
		.amdhsa_exception_fp_ieee_underflow 0
		.amdhsa_exception_fp_ieee_inexact 0
		.amdhsa_exception_int_div_zero 0
	.end_amdhsa_kernel
	.section	.text._ZN4vllm4gptq33gemm_half_q_half_gptq_8bit_kernelILb1ELi8EEEvPK6__halfPKjS6_S4_PS2_iiiibPKi,"axG",@progbits,_ZN4vllm4gptq33gemm_half_q_half_gptq_8bit_kernelILb1ELi8EEEvPK6__halfPKjS6_S4_PS2_iiiibPKi,comdat
.Lfunc_end46:
	.size	_ZN4vllm4gptq33gemm_half_q_half_gptq_8bit_kernelILb1ELi8EEEvPK6__halfPKjS6_S4_PS2_iiiibPKi, .Lfunc_end46-_ZN4vllm4gptq33gemm_half_q_half_gptq_8bit_kernelILb1ELi8EEEvPK6__halfPKjS6_S4_PS2_iiiibPKi
                                        ; -- End function
	.set _ZN4vllm4gptq33gemm_half_q_half_gptq_8bit_kernelILb1ELi8EEEvPK6__halfPKjS6_S4_PS2_iiiibPKi.num_vgpr, 106
	.set _ZN4vllm4gptq33gemm_half_q_half_gptq_8bit_kernelILb1ELi8EEEvPK6__halfPKjS6_S4_PS2_iiiibPKi.num_agpr, 0
	.set _ZN4vllm4gptq33gemm_half_q_half_gptq_8bit_kernelILb1ELi8EEEvPK6__halfPKjS6_S4_PS2_iiiibPKi.numbered_sgpr, 24
	.set _ZN4vllm4gptq33gemm_half_q_half_gptq_8bit_kernelILb1ELi8EEEvPK6__halfPKjS6_S4_PS2_iiiibPKi.num_named_barrier, 0
	.set _ZN4vllm4gptq33gemm_half_q_half_gptq_8bit_kernelILb1ELi8EEEvPK6__halfPKjS6_S4_PS2_iiiibPKi.private_seg_size, 0
	.set _ZN4vllm4gptq33gemm_half_q_half_gptq_8bit_kernelILb1ELi8EEEvPK6__halfPKjS6_S4_PS2_iiiibPKi.uses_vcc, 1
	.set _ZN4vllm4gptq33gemm_half_q_half_gptq_8bit_kernelILb1ELi8EEEvPK6__halfPKjS6_S4_PS2_iiiibPKi.uses_flat_scratch, 0
	.set _ZN4vllm4gptq33gemm_half_q_half_gptq_8bit_kernelILb1ELi8EEEvPK6__halfPKjS6_S4_PS2_iiiibPKi.has_dyn_sized_stack, 0
	.set _ZN4vllm4gptq33gemm_half_q_half_gptq_8bit_kernelILb1ELi8EEEvPK6__halfPKjS6_S4_PS2_iiiibPKi.has_recursion, 0
	.set _ZN4vllm4gptq33gemm_half_q_half_gptq_8bit_kernelILb1ELi8EEEvPK6__halfPKjS6_S4_PS2_iiiibPKi.has_indirect_call, 0
	.section	.AMDGPU.csdata,"",@progbits
; Kernel info:
; codeLenInByte = 15492
; TotalNumSgprs: 26
; NumVgprs: 106
; ScratchSize: 0
; MemoryBound: 0
; FloatMode: 240
; IeeeMode: 1
; LDSByteSize: 2048 bytes/workgroup (compile time only)
; SGPRBlocks: 0
; VGPRBlocks: 13
; NumSGPRsForWavesPerEU: 26
; NumVGPRsForWavesPerEU: 106
; Occupancy: 9
; WaveLimiterHint : 0
; COMPUTE_PGM_RSRC2:SCRATCH_EN: 0
; COMPUTE_PGM_RSRC2:USER_SGPR: 6
; COMPUTE_PGM_RSRC2:TRAP_HANDLER: 0
; COMPUTE_PGM_RSRC2:TGID_X_EN: 1
; COMPUTE_PGM_RSRC2:TGID_Y_EN: 1
; COMPUTE_PGM_RSRC2:TGID_Z_EN: 1
; COMPUTE_PGM_RSRC2:TIDIG_COMP_CNT: 0
	.section	.text._ZN4vllm4gptq23reconstruct_gptq_kernelINS0_17MatrixView_q4_rowELi4EEEvPKjPK6__halfS4_PKiiiibPS5_,"axG",@progbits,_ZN4vllm4gptq23reconstruct_gptq_kernelINS0_17MatrixView_q4_rowELi4EEEvPKjPK6__halfS4_PKiiiibPS5_,comdat
	.protected	_ZN4vllm4gptq23reconstruct_gptq_kernelINS0_17MatrixView_q4_rowELi4EEEvPKjPK6__halfS4_PKiiiibPS5_ ; -- Begin function _ZN4vllm4gptq23reconstruct_gptq_kernelINS0_17MatrixView_q4_rowELi4EEEvPKjPK6__halfS4_PKiiiibPS5_
	.globl	_ZN4vllm4gptq23reconstruct_gptq_kernelINS0_17MatrixView_q4_rowELi4EEEvPKjPK6__halfS4_PKiiiibPS5_
	.p2align	8
	.type	_ZN4vllm4gptq23reconstruct_gptq_kernelINS0_17MatrixView_q4_rowELi4EEEvPKjPK6__halfS4_PKiiiibPS5_,@function
_ZN4vllm4gptq23reconstruct_gptq_kernelINS0_17MatrixView_q4_rowELi4EEEvPKjPK6__halfS4_PKiiiibPS5_: ; @_ZN4vllm4gptq23reconstruct_gptq_kernelINS0_17MatrixView_q4_rowELi4EEEvPKjPK6__halfS4_PKiiiibPS5_
; %bb.0:
	s_load_dword s0, s[4:5], 0x24
	v_lshl_add_u32 v1, s6, 7, v0
	s_mov_b32 s1, exec_lo
	s_waitcnt lgkmcnt(0)
	v_cmpx_gt_u32_e64 s0, v1
	s_cbranch_execz .LBB47_2
; %bb.1:
	s_clause 0x1
	s_load_dword s1, s[4:5], 0x2c
	s_load_dwordx8 s[8:15], s[4:5], 0x0
	v_mad_u64_u32 v[2:3], null, s0, s7, v[1:2]
	v_mov_b32_e32 v3, 0
	v_ashrrev_i32_e32 v4, 31, v1
	s_load_dwordx2 s[4:5], s[4:5], 0x30
	v_lshrrev_b32_e32 v4, 29, v4
	v_lshlrev_b64 v[2:3], 2, v[2:3]
	v_add_nc_u32_e32 v6, v1, v4
	s_waitcnt lgkmcnt(0)
	s_bitcmp1_b32 s1, 0
	v_add_co_u32 v4, vcc_lo, s8, v2
	s_cselect_b32 s2, -1, 0
	s_lshl_b32 s1, s7, 5
	v_add_co_ci_u32_e64 v5, null, s9, v3, vcc_lo
	s_load_dwordx8 s[16:23], s[14:15], s1 offset:0x0
	v_ashrrev_i32_e32 v3, 3, v6
	s_xor_b32 s2, s2, -1
	global_load_dword v2, v[4:5], off
	v_cndmask_b32_e64 v34, 0, 1, s2
	s_waitcnt lgkmcnt(0)
	s_mul_i32 s1, s16, s0
	s_mul_i32 s3, s17, s0
	s_ashr_i32 s9, s1, 31
	s_ashr_i32 s14, s3, 31
	s_lshr_b32 s9, s9, 29
	v_add_nc_u32_e32 v4, s1, v1
	s_lshr_b32 s14, s14, 29
	s_add_i32 s1, s1, s9
	v_add_nc_u32_e32 v6, s3, v1
	s_add_i32 s3, s3, s14
	s_ashr_i32 s1, s1, 3
	s_ashr_i32 s3, s3, 3
	v_add_nc_u32_e32 v10, s1, v3
	v_ashrrev_i32_e32 v5, 31, v4
	s_mul_i32 s6, s18, s0
	v_add_nc_u32_e32 v12, s3, v3
	v_ashrrev_i32_e32 v7, 31, v6
	s_ashr_i32 s15, s6, 31
	v_ashrrev_i32_e32 v11, 31, v10
	s_lshr_b32 s15, s15, 29
	v_lshlrev_b64 v[4:5], 1, v[4:5]
	v_ashrrev_i32_e32 v13, 31, v12
	v_add_nc_u32_e32 v8, s6, v1
	s_add_i32 s6, s6, s15
	v_lshlrev_b64 v[6:7], 1, v[6:7]
	s_mul_i32 s8, s19, s0
	s_ashr_i32 s6, s6, 3
	v_lshlrev_b64 v[10:11], 2, v[10:11]
	s_ashr_i32 s16, s8, 31
	v_add_nc_u32_e32 v14, s6, v3
	v_add_co_u32 v4, vcc_lo, s10, v4
	v_lshlrev_b64 v[12:13], 2, v[12:13]
	s_lshr_b32 s16, s16, 29
	v_add_co_ci_u32_e64 v5, null, s11, v5, vcc_lo
	v_add_co_u32 v6, vcc_lo, s10, v6
	v_ashrrev_i32_e32 v9, 31, v8
	s_add_i32 s9, s8, s16
	v_add_co_ci_u32_e64 v7, null, s11, v7, vcc_lo
	v_add_co_u32 v10, vcc_lo, s12, v10
	v_ashrrev_i32_e32 v15, 31, v14
	s_ashr_i32 s9, s9, 3
	v_add_co_ci_u32_e64 v11, null, s13, v11, vcc_lo
	v_add_co_u32 v12, vcc_lo, s12, v12
	v_add_nc_u32_e32 v16, s9, v3
	v_lshlrev_b64 v[8:9], 1, v[8:9]
	v_add_co_ci_u32_e64 v13, null, s13, v13, vcc_lo
	s_clause 0x1
	global_load_ushort v4, v[4:5], off
	global_load_ushort v5, v[6:7], off
	s_clause 0x1
	global_load_dword v6, v[10:11], off
	global_load_dword v7, v[12:13], off
	v_lshlrev_b64 v[10:11], 2, v[14:15]
	s_mul_i32 s1, s20, s0
	v_ashrrev_i32_e32 v17, 31, v16
	v_add_co_u32 v8, vcc_lo, s10, v8
	v_add_nc_u32_e32 v12, s8, v1
	s_mul_i32 s3, s21, s0
	s_ashr_i32 s6, s1, 31
	v_add_co_ci_u32_e64 v9, null, s11, v9, vcc_lo
	v_add_co_u32 v10, vcc_lo, s12, v10
	s_ashr_i32 s8, s3, 31
	s_lshr_b32 s6, s6, 29
	v_lshlrev_b64 v[14:15], 2, v[16:17]
	v_add_co_ci_u32_e64 v11, null, s13, v11, vcc_lo
	v_add_nc_u32_e32 v16, s1, v1
	s_lshr_b32 s8, s8, 29
	s_add_i32 s1, s1, s6
	v_ashrrev_i32_e32 v13, 31, v12
	s_add_i32 s6, s3, s8
	s_ashr_i32 s1, s1, 3
	global_load_ushort v8, v[8:9], off
	global_load_dword v23, v[10:11], off
	s_ashr_i32 s6, s6, 3
	v_add_nc_u32_e32 v11, s1, v3
	s_mul_i32 s1, s22, s0
	v_lshlrev_b64 v[9:10], 1, v[12:13]
	v_add_nc_u32_e32 v13, s6, v3
	s_ashr_i32 s6, s1, 31
	v_add_co_u32 v14, vcc_lo, s12, v14
	s_lshr_b32 s6, s6, 29
	v_add_co_ci_u32_e64 v15, null, s13, v15, vcc_lo
	v_ashrrev_i32_e32 v17, 31, v16
	s_add_i32 s6, s1, s6
	s_mul_i32 s8, s23, s0
	s_ashr_i32 s6, s6, 3
	s_ashr_i32 s9, s8, 31
	global_load_dword v24, v[14:15], off
	v_lshlrev_b64 v[15:16], 1, v[16:17]
	v_add_nc_u32_e32 v17, s6, v3
	s_lshr_b32 s6, s9, 29
	v_ashrrev_i32_e32 v12, 31, v11
	s_add_i32 s6, s8, s6
	v_ashrrev_i32_e32 v14, 31, v13
	s_ashr_i32 s6, s6, 3
	v_ashrrev_i32_e32 v18, 31, v17
	v_add_nc_u32_e32 v19, s6, v3
	v_lshlrev_b64 v[11:12], 2, v[11:12]
	v_lshlrev_b64 v[13:14], 2, v[13:14]
	v_add_nc_u32_e32 v21, s3, v1
	v_lshlrev_b64 v[17:18], 2, v[17:18]
	v_ashrrev_i32_e32 v20, 31, v19
	v_add_co_u32 v11, vcc_lo, s12, v11
	v_add_co_ci_u32_e64 v12, null, s13, v12, vcc_lo
	v_lshlrev_b64 v[19:20], 2, v[19:20]
	v_add_co_u32 v13, vcc_lo, s12, v13
	v_add_co_ci_u32_e64 v14, null, s13, v14, vcc_lo
	v_add_co_u32 v17, vcc_lo, s12, v17
	v_add_co_ci_u32_e64 v18, null, s13, v18, vcc_lo
	;; [unrolled: 2-line block ×3, first 2 shown]
	global_load_dword v3, v[11:12], off
	v_add_nc_u32_e32 v11, s1, v1
	s_clause 0x2
	global_load_dword v25, v[13:14], off
	global_load_dword v26, v[17:18], off
	;; [unrolled: 1-line block ×3, first 2 shown]
	v_add_nc_u32_e32 v17, s8, v1
	v_ashrrev_i32_e32 v22, 31, v21
	v_add_co_u32 v9, vcc_lo, s10, v9
	v_ashrrev_i32_e32 v12, 31, v11
	v_ashrrev_i32_e32 v18, 31, v17
	v_lshlrev_b64 v[13:14], 1, v[21:22]
	v_add_co_ci_u32_e64 v10, null, s11, v10, vcc_lo
	v_lshlrev_b64 v[11:12], 1, v[11:12]
	v_add_co_u32 v15, vcc_lo, s10, v15
	v_lshlrev_b64 v[17:18], 1, v[17:18]
	v_add_co_ci_u32_e64 v16, null, s11, v16, vcc_lo
	v_add_co_u32 v13, vcc_lo, s10, v13
	v_add_co_ci_u32_e64 v14, null, s11, v14, vcc_lo
	v_add_co_u32 v11, vcc_lo, s10, v11
	;; [unrolled: 2-line block ×3, first 2 shown]
	v_add_co_ci_u32_e64 v18, null, s11, v18, vcc_lo
	s_clause 0x4
	global_load_ushort v28, v[9:10], off
	global_load_ushort v29, v[15:16], off
	global_load_ushort v30, v[13:14], off
	global_load_ushort v31, v[11:12], off
	global_load_ushort v32, v[17:18], off
	s_lshl_b32 s1, s7, 3
	v_lshlrev_b32_e32 v19, 2, v0
	s_and_b32 s1, s1, 0x3ffffff8
	v_and_b32_e32 v33, 28, v19
	s_waitcnt vmcnt(16)
	v_mad_u64_u32 v[9:10], null, s0, s1, v[1:2]
	s_ashr_i32 s1, s0, 31
	v_and_b32_e32 v35, 15, v2
	s_lshl_b64 s[0:1], s[0:1], 1
	v_bfe_u32 v36, v2, 4, 4
	v_bfe_u32 v37, v2, 8, 4
	;; [unrolled: 1-line block ×3, first 2 shown]
	v_ashrrev_i32_e32 v10, 31, v9
	v_bfe_u32 v39, v2, 16, 4
	v_bfe_u32 v40, v2, 20, 4
	;; [unrolled: 1-line block ×3, first 2 shown]
	v_lshrrev_b32_e32 v2, 28, v2
	v_lshlrev_b64 v[9:10], 1, v[9:10]
	v_sub_nc_u32_e32 v35, v35, v34
	v_sub_nc_u32_e32 v36, v36, v34
	;; [unrolled: 1-line block ×5, first 2 shown]
	v_add_co_u32 v9, vcc_lo, s4, v9
	v_add_co_ci_u32_e64 v10, null, s5, v10, vcc_lo
	v_sub_nc_u32_e32 v40, v40, v34
	v_add_co_u32 v11, vcc_lo, v9, s0
	v_add_co_ci_u32_e64 v12, null, s1, v10, vcc_lo
	v_sub_nc_u32_e32 v41, v41, v34
	;; [unrolled: 3-line block ×3, first 2 shown]
	v_add_co_u32 v15, vcc_lo, v13, s0
	v_add_co_ci_u32_e64 v16, null, s1, v14, vcc_lo
	v_add_co_u32 v17, vcc_lo, v15, s0
	v_add_co_ci_u32_e64 v18, null, s1, v16, vcc_lo
	;; [unrolled: 2-line block ×5, first 2 shown]
	s_waitcnt vmcnt(13)
	v_bfe_u32 v6, v6, v33, 4
	s_waitcnt vmcnt(12)
	v_bfe_u32 v7, v7, v33, 4
	v_sub_nc_u32_e32 v6, v35, v6
	v_sub_nc_u32_e32 v7, v36, v7
	v_cvt_f32_i32_e32 v6, v6
	v_cvt_f32_i32_e32 v7, v7
	v_cvt_f16_f32_e32 v6, v6
	v_cvt_f16_f32_e32 v7, v7
	v_mul_f16_e32 v4, v4, v6
	v_mul_f16_e32 v5, v5, v7
	s_waitcnt vmcnt(10)
	v_bfe_u32 v23, v23, v33, 4
	v_sub_nc_u32_e32 v23, v37, v23
	v_cvt_f32_i32_e32 v23, v23
	v_cvt_f16_f32_e32 v23, v23
	s_waitcnt vmcnt(9)
	v_bfe_u32 v24, v24, v33, 4
	v_mul_f16_e32 v6, v8, v23
	v_sub_nc_u32_e32 v24, v38, v24
	v_cvt_f32_i32_e32 v24, v24
	v_cvt_f16_f32_e32 v24, v24
	s_waitcnt vmcnt(8)
	v_bfe_u32 v3, v3, v33, 4
	s_waitcnt vmcnt(7)
	v_bfe_u32 v25, v25, v33, 4
	;; [unrolled: 2-line block ×4, first 2 shown]
	v_sub_nc_u32_e32 v3, v39, v3
	v_sub_nc_u32_e32 v25, v40, v25
	;; [unrolled: 1-line block ×4, first 2 shown]
	v_cvt_f32_i32_e32 v3, v3
	v_cvt_f32_i32_e32 v25, v25
	;; [unrolled: 1-line block ×4, first 2 shown]
	v_cvt_f16_f32_e32 v3, v3
	v_cvt_f16_f32_e32 v25, v25
	;; [unrolled: 1-line block ×4, first 2 shown]
	s_waitcnt vmcnt(4)
	v_mul_f16_e32 v7, v28, v24
	s_waitcnt vmcnt(3)
	v_mul_f16_e32 v3, v29, v3
	;; [unrolled: 2-line block ×5, first 2 shown]
	global_store_short v[9:10], v4, off
	global_store_short v[11:12], v5, off
	;; [unrolled: 1-line block ×8, first 2 shown]
.LBB47_2:
	s_endpgm
	.section	.rodata,"a",@progbits
	.p2align	6, 0x0
	.amdhsa_kernel _ZN4vllm4gptq23reconstruct_gptq_kernelINS0_17MatrixView_q4_rowELi4EEEvPKjPK6__halfS4_PKiiiibPS5_
		.amdhsa_group_segment_fixed_size 0
		.amdhsa_private_segment_fixed_size 0
		.amdhsa_kernarg_size 56
		.amdhsa_user_sgpr_count 6
		.amdhsa_user_sgpr_private_segment_buffer 1
		.amdhsa_user_sgpr_dispatch_ptr 0
		.amdhsa_user_sgpr_queue_ptr 0
		.amdhsa_user_sgpr_kernarg_segment_ptr 1
		.amdhsa_user_sgpr_dispatch_id 0
		.amdhsa_user_sgpr_flat_scratch_init 0
		.amdhsa_user_sgpr_private_segment_size 0
		.amdhsa_wavefront_size32 1
		.amdhsa_uses_dynamic_stack 0
		.amdhsa_system_sgpr_private_segment_wavefront_offset 0
		.amdhsa_system_sgpr_workgroup_id_x 1
		.amdhsa_system_sgpr_workgroup_id_y 1
		.amdhsa_system_sgpr_workgroup_id_z 0
		.amdhsa_system_sgpr_workgroup_info 0
		.amdhsa_system_vgpr_workitem_id 0
		.amdhsa_next_free_vgpr 42
		.amdhsa_next_free_sgpr 24
		.amdhsa_reserve_vcc 1
		.amdhsa_reserve_flat_scratch 0
		.amdhsa_float_round_mode_32 0
		.amdhsa_float_round_mode_16_64 0
		.amdhsa_float_denorm_mode_32 3
		.amdhsa_float_denorm_mode_16_64 3
		.amdhsa_dx10_clamp 1
		.amdhsa_ieee_mode 1
		.amdhsa_fp16_overflow 0
		.amdhsa_workgroup_processor_mode 1
		.amdhsa_memory_ordered 1
		.amdhsa_forward_progress 1
		.amdhsa_shared_vgpr_count 0
		.amdhsa_exception_fp_ieee_invalid_op 0
		.amdhsa_exception_fp_denorm_src 0
		.amdhsa_exception_fp_ieee_div_zero 0
		.amdhsa_exception_fp_ieee_overflow 0
		.amdhsa_exception_fp_ieee_underflow 0
		.amdhsa_exception_fp_ieee_inexact 0
		.amdhsa_exception_int_div_zero 0
	.end_amdhsa_kernel
	.section	.text._ZN4vllm4gptq23reconstruct_gptq_kernelINS0_17MatrixView_q4_rowELi4EEEvPKjPK6__halfS4_PKiiiibPS5_,"axG",@progbits,_ZN4vllm4gptq23reconstruct_gptq_kernelINS0_17MatrixView_q4_rowELi4EEEvPKjPK6__halfS4_PKiiiibPS5_,comdat
.Lfunc_end47:
	.size	_ZN4vllm4gptq23reconstruct_gptq_kernelINS0_17MatrixView_q4_rowELi4EEEvPKjPK6__halfS4_PKiiiibPS5_, .Lfunc_end47-_ZN4vllm4gptq23reconstruct_gptq_kernelINS0_17MatrixView_q4_rowELi4EEEvPKjPK6__halfS4_PKiiiibPS5_
                                        ; -- End function
	.set _ZN4vllm4gptq23reconstruct_gptq_kernelINS0_17MatrixView_q4_rowELi4EEEvPKjPK6__halfS4_PKiiiibPS5_.num_vgpr, 42
	.set _ZN4vllm4gptq23reconstruct_gptq_kernelINS0_17MatrixView_q4_rowELi4EEEvPKjPK6__halfS4_PKiiiibPS5_.num_agpr, 0
	.set _ZN4vllm4gptq23reconstruct_gptq_kernelINS0_17MatrixView_q4_rowELi4EEEvPKjPK6__halfS4_PKiiiibPS5_.numbered_sgpr, 24
	.set _ZN4vllm4gptq23reconstruct_gptq_kernelINS0_17MatrixView_q4_rowELi4EEEvPKjPK6__halfS4_PKiiiibPS5_.num_named_barrier, 0
	.set _ZN4vllm4gptq23reconstruct_gptq_kernelINS0_17MatrixView_q4_rowELi4EEEvPKjPK6__halfS4_PKiiiibPS5_.private_seg_size, 0
	.set _ZN4vllm4gptq23reconstruct_gptq_kernelINS0_17MatrixView_q4_rowELi4EEEvPKjPK6__halfS4_PKiiiibPS5_.uses_vcc, 1
	.set _ZN4vllm4gptq23reconstruct_gptq_kernelINS0_17MatrixView_q4_rowELi4EEEvPKjPK6__halfS4_PKiiiibPS5_.uses_flat_scratch, 0
	.set _ZN4vllm4gptq23reconstruct_gptq_kernelINS0_17MatrixView_q4_rowELi4EEEvPKjPK6__halfS4_PKiiiibPS5_.has_dyn_sized_stack, 0
	.set _ZN4vllm4gptq23reconstruct_gptq_kernelINS0_17MatrixView_q4_rowELi4EEEvPKjPK6__halfS4_PKiiiibPS5_.has_recursion, 0
	.set _ZN4vllm4gptq23reconstruct_gptq_kernelINS0_17MatrixView_q4_rowELi4EEEvPKjPK6__halfS4_PKiiiibPS5_.has_indirect_call, 0
	.section	.AMDGPU.csdata,"",@progbits
; Kernel info:
; codeLenInByte = 1560
; TotalNumSgprs: 26
; NumVgprs: 42
; ScratchSize: 0
; MemoryBound: 0
; FloatMode: 240
; IeeeMode: 1
; LDSByteSize: 0 bytes/workgroup (compile time only)
; SGPRBlocks: 0
; VGPRBlocks: 5
; NumSGPRsForWavesPerEU: 26
; NumVGPRsForWavesPerEU: 42
; Occupancy: 16
; WaveLimiterHint : 1
; COMPUTE_PGM_RSRC2:SCRATCH_EN: 0
; COMPUTE_PGM_RSRC2:USER_SGPR: 6
; COMPUTE_PGM_RSRC2:TRAP_HANDLER: 0
; COMPUTE_PGM_RSRC2:TGID_X_EN: 1
; COMPUTE_PGM_RSRC2:TGID_Y_EN: 1
; COMPUTE_PGM_RSRC2:TGID_Z_EN: 0
; COMPUTE_PGM_RSRC2:TIDIG_COMP_CNT: 0
	.section	.text._ZN4vllm4gptq23reconstruct_gptq_kernelINS0_17MatrixView_q2_rowELi2EEEvPKjPK6__halfS4_PKiiiibPS5_,"axG",@progbits,_ZN4vllm4gptq23reconstruct_gptq_kernelINS0_17MatrixView_q2_rowELi2EEEvPKjPK6__halfS4_PKiiiibPS5_,comdat
	.protected	_ZN4vllm4gptq23reconstruct_gptq_kernelINS0_17MatrixView_q2_rowELi2EEEvPKjPK6__halfS4_PKiiiibPS5_ ; -- Begin function _ZN4vllm4gptq23reconstruct_gptq_kernelINS0_17MatrixView_q2_rowELi2EEEvPKjPK6__halfS4_PKiiiibPS5_
	.globl	_ZN4vllm4gptq23reconstruct_gptq_kernelINS0_17MatrixView_q2_rowELi2EEEvPKjPK6__halfS4_PKiiiibPS5_
	.p2align	8
	.type	_ZN4vllm4gptq23reconstruct_gptq_kernelINS0_17MatrixView_q2_rowELi2EEEvPKjPK6__halfS4_PKiiiibPS5_,@function
_ZN4vllm4gptq23reconstruct_gptq_kernelINS0_17MatrixView_q2_rowELi2EEEvPKjPK6__halfS4_PKiiiibPS5_: ; @_ZN4vllm4gptq23reconstruct_gptq_kernelINS0_17MatrixView_q2_rowELi2EEEvPKjPK6__halfS4_PKiiiibPS5_
; %bb.0:
	s_load_dword s0, s[4:5], 0x24
	v_lshl_add_u32 v1, s6, 7, v0
	s_mov_b32 s1, exec_lo
	s_waitcnt lgkmcnt(0)
	v_cmpx_gt_u32_e64 s0, v1
	s_cbranch_execz .LBB48_2
; %bb.1:
	s_clause 0x1
	s_load_dword s1, s[4:5], 0x2c
	s_load_dwordx8 s[24:31], s[4:5], 0x0
	s_mov_b32 s3, 0
	v_mad_u64_u32 v[2:3], null, s0, s7, v[1:2]
	v_mov_b32_e32 v3, 0
	v_ashrrev_i32_e32 v4, 31, v1
	s_load_dwordx2 s[4:5], s[4:5], 0x30
	v_lshrrev_b32_e32 v4, 28, v4
	v_lshlrev_b64 v[2:3], 2, v[2:3]
	v_add_nc_u32_e32 v6, v1, v4
	s_waitcnt lgkmcnt(0)
	s_bitcmp1_b32 s1, 0
	v_add_co_u32 v4, vcc_lo, s24, v2
	s_cselect_b32 s8, -1, 0
	s_lshl_b32 s1, s7, 4
	v_add_co_ci_u32_e64 v5, null, s25, v3, vcc_lo
	s_and_b32 s2, s1, 0x7ffffff0
	s_ashr_i32 s1, s0, 31
	s_lshl_b64 s[6:7], s[2:3], 2
	s_xor_b32 s3, s8, -1
	s_add_u32 s6, s30, s6
	s_addc_u32 s7, s31, s7
	v_ashrrev_i32_e32 v3, 4, v6
	s_load_dwordx16 s[8:23], s[6:7], 0x0
	global_load_dword v2, v[4:5], off
	v_cndmask_b32_e64 v43, 0, 1, s3
	s_waitcnt lgkmcnt(0)
	s_mul_i32 s6, s8, s0
	s_mul_i32 s7, s9, s0
	;; [unrolled: 1-line block ×3, first 2 shown]
	s_ashr_i32 s10, s6, 31
	s_mul_i32 s9, s11, s0
	s_ashr_i32 s11, s7, 31
	s_lshr_b32 s10, s10, 28
	v_add_nc_u32_e32 v4, s6, v1
	s_lshr_b32 s11, s11, 28
	s_add_i32 s6, s6, s10
	v_add_nc_u32_e32 v6, s7, v1
	s_add_i32 s7, s7, s11
	s_ashr_i32 s6, s6, 4
	s_ashr_i32 s7, s7, 4
	v_add_nc_u32_e32 v10, s6, v3
	v_ashrrev_i32_e32 v5, 31, v4
	v_add_nc_u32_e32 v12, s7, v3
	v_ashrrev_i32_e32 v7, 31, v6
	;; [unrolled: 2-line block ×3, first 2 shown]
	v_lshlrev_b64 v[4:5], 1, v[4:5]
	s_ashr_i32 s24, s8, 31
	v_ashrrev_i32_e32 v13, 31, v12
	v_lshlrev_b64 v[6:7], 1, v[6:7]
	s_lshr_b32 s24, s24, 28
	v_ashrrev_i32_e32 v9, 31, v8
	v_lshlrev_b64 v[10:11], 2, v[10:11]
	s_add_i32 s8, s8, s24
	v_add_co_u32 v4, vcc_lo, s26, v4
	v_lshlrev_b64 v[12:13], 2, v[12:13]
	s_ashr_i32 s8, s8, 4
	v_lshlrev_b64 v[8:9], 1, v[8:9]
	v_add_co_ci_u32_e64 v5, null, s27, v5, vcc_lo
	v_add_co_u32 v6, vcc_lo, s26, v6
	v_add_nc_u32_e32 v14, s8, v3
	v_add_co_ci_u32_e64 v7, null, s27, v7, vcc_lo
	v_add_co_u32 v10, vcc_lo, s28, v10
	v_add_co_ci_u32_e64 v11, null, s29, v11, vcc_lo
	v_add_co_u32 v12, vcc_lo, s28, v12
	v_ashrrev_i32_e32 v15, 31, v14
	v_add_co_ci_u32_e64 v13, null, s29, v13, vcc_lo
	v_add_co_u32 v16, vcc_lo, s26, v8
	s_ashr_i32 s6, s9, 31
	v_add_co_ci_u32_e64 v17, null, s27, v9, vcc_lo
	v_add_nc_u32_e32 v9, s9, v1
	s_lshr_b32 s6, s6, 28
	s_clause 0x1
	global_load_ushort v4, v[4:5], off
	global_load_ushort v5, v[6:7], off
	s_clause 0x1
	global_load_dword v7, v[10:11], off
	global_load_dword v8, v[12:13], off
	s_add_i32 s9, s9, s6
	v_lshlrev_b64 v[11:12], 2, v[14:15]
	s_ashr_i32 s6, s9, 4
	v_ashrrev_i32_e32 v10, 31, v9
	v_add_nc_u32_e32 v13, s6, v3
	s_mul_i32 s6, s12, s0
	global_load_ushort v6, v[16:17], off
	v_add_co_u32 v11, vcc_lo, s28, v11
	v_lshlrev_b64 v[15:16], 1, v[9:10]
	s_ashr_i32 s7, s6, 31
	v_add_co_ci_u32_e64 v12, null, s29, v12, vcc_lo
	v_ashrrev_i32_e32 v14, 31, v13
	s_lshr_b32 s7, s7, 28
	s_mul_i32 s9, s22, s0
	s_add_i32 s7, s6, s7
	global_load_dword v9, v[11:12], off
	v_lshlrev_b64 v[10:11], 2, v[13:14]
	v_add_co_u32 v12, vcc_lo, s26, v15
	s_ashr_i32 s7, s7, 4
	v_add_nc_u32_e32 v14, s6, v1
	v_add_co_ci_u32_e64 v13, null, s27, v16, vcc_lo
	v_add_nc_u32_e32 v16, s7, v3
	s_mul_i32 s6, s13, s0
	v_ashrrev_i32_e32 v15, 31, v14
	v_add_co_u32 v18, vcc_lo, s28, v10
	v_ashrrev_i32_e32 v17, 31, v16
	global_load_ushort v10, v[12:13], off
	v_add_nc_u32_e32 v12, s6, v1
	v_lshlrev_b64 v[14:15], 1, v[14:15]
	v_add_co_ci_u32_e64 v19, null, s29, v11, vcc_lo
	v_lshlrev_b64 v[16:17], 2, v[16:17]
	v_ashrrev_i32_e32 v13, 31, v12
	s_ashr_i32 s7, s6, 31
	v_add_co_u32 v14, vcc_lo, s26, v14
	v_add_co_ci_u32_e64 v15, null, s27, v15, vcc_lo
	v_lshlrev_b64 v[12:13], 1, v[12:13]
	v_add_co_u32 v16, vcc_lo, s28, v16
	s_lshr_b32 s7, s7, 28
	v_add_co_ci_u32_e64 v17, null, s29, v17, vcc_lo
	s_add_i32 s6, s6, s7
	v_add_co_u32 v20, vcc_lo, s26, v12
	s_ashr_i32 s6, s6, 4
	global_load_dword v11, v[18:19], off
	v_add_co_ci_u32_e64 v21, null, s27, v13, vcc_lo
	global_load_ushort v13, v[14:15], off
	global_load_dword v14, v[16:17], off
	v_add_nc_u32_e32 v18, s6, v3
	s_mul_i32 s6, s14, s0
	global_load_ushort v12, v[20:21], off
	v_add_nc_u32_e32 v15, s6, v1
	s_ashr_i32 s7, s6, 31
	v_ashrrev_i32_e32 v19, 31, v18
	s_lshr_b32 s7, s7, 28
	v_ashrrev_i32_e32 v16, 31, v15
	s_add_i32 s6, s6, s7
	v_lshlrev_b64 v[17:18], 2, v[18:19]
	s_ashr_i32 s6, s6, 4
	s_mul_i32 s7, s15, s0
	v_lshlrev_b64 v[15:16], 1, v[15:16]
	v_add_nc_u32_e32 v19, s6, v3
	s_ashr_i32 s6, s7, 31
	v_add_co_u32 v17, vcc_lo, s28, v17
	v_add_co_ci_u32_e64 v18, null, s29, v18, vcc_lo
	v_add_co_u32 v23, vcc_lo, s26, v15
	v_add_co_ci_u32_e64 v24, null, s27, v16, vcc_lo
	s_lshr_b32 s6, s6, 28
	global_load_dword v16, v[17:18], off
	global_load_ushort v15, v[23:24], off
	v_add_nc_u32_e32 v21, s7, v1
	v_ashrrev_i32_e32 v20, 31, v19
	s_add_i32 s7, s7, s6
	s_ashr_i32 s6, s7, 4
	v_ashrrev_i32_e32 v22, 31, v21
	v_lshlrev_b64 v[17:18], 2, v[19:20]
	s_mul_i32 s7, s16, s0
	v_add_nc_u32_e32 v23, s7, v1
	v_lshlrev_b64 v[19:20], 1, v[21:22]
	v_add_nc_u32_e32 v21, s6, v3
	s_ashr_i32 s6, s7, 31
	v_add_co_u32 v17, vcc_lo, s28, v17
	s_lshr_b32 s6, s6, 28
	v_ashrrev_i32_e32 v22, 31, v21
	s_add_i32 s6, s7, s6
	v_add_co_ci_u32_e64 v18, null, s29, v18, vcc_lo
	v_add_co_u32 v19, vcc_lo, s26, v19
	s_ashr_i32 s6, s6, 4
	v_lshlrev_b64 v[21:22], 2, v[21:22]
	v_add_co_ci_u32_e64 v20, null, s27, v20, vcc_lo
	v_add_nc_u32_e32 v25, s6, v3
	v_ashrrev_i32_e32 v24, 31, v23
	global_load_dword v18, v[17:18], off
	global_load_ushort v17, v[19:20], off
	v_add_co_u32 v19, vcc_lo, s28, v21
	s_mul_i32 s6, s17, s0
	v_ashrrev_i32_e32 v26, 31, v25
	v_add_co_ci_u32_e64 v20, null, s29, v22, vcc_lo
	v_lshlrev_b64 v[21:22], 1, v[23:24]
	s_ashr_i32 s7, s6, 31
	v_lshlrev_b64 v[23:24], 2, v[25:26]
	s_lshr_b32 s7, s7, 28
	v_add_nc_u32_e32 v25, s6, v1
	s_add_i32 s6, s6, s7
	v_add_co_u32 v27, vcc_lo, s26, v21
	s_ashr_i32 s6, s6, 4
	v_add_co_ci_u32_e64 v28, null, s27, v22, vcc_lo
	v_add_nc_u32_e32 v22, s6, v3
	v_ashrrev_i32_e32 v26, 31, v25
	v_add_co_u32 v29, vcc_lo, s28, v23
	s_mul_i32 s6, s18, s0
	v_ashrrev_i32_e32 v23, 31, v22
	v_add_co_ci_u32_e64 v30, null, s29, v24, vcc_lo
	v_lshlrev_b64 v[24:25], 1, v[25:26]
	v_add_nc_u32_e32 v26, s6, v1
	v_lshlrev_b64 v[22:23], 2, v[22:23]
	global_load_dword v21, v[19:20], off
	global_load_ushort v19, v[27:28], off
	s_ashr_i32 s7, s6, 31
	v_ashrrev_i32_e32 v27, 31, v26
	v_add_co_u32 v24, vcc_lo, s26, v24
	s_lshr_b32 s7, s7, 28
	v_add_co_ci_u32_e64 v25, null, s27, v25, vcc_lo
	v_add_co_u32 v28, vcc_lo, s28, v22
	s_add_i32 s6, s6, s7
	v_lshlrev_b64 v[26:27], 1, v[26:27]
	global_load_dword v20, v[29:30], off
	v_add_co_ci_u32_e64 v29, null, s29, v23, vcc_lo
	s_ashr_i32 s6, s6, 4
	global_load_ushort v22, v[24:25], off
	v_add_nc_u32_e32 v25, s6, v3
	s_mul_i32 s6, s19, s0
	global_load_dword v23, v[28:29], off
	s_ashr_i32 s7, s6, 31
	v_add_co_u32 v28, vcc_lo, s26, v26
	s_lshr_b32 s7, s7, 28
	v_add_co_ci_u32_e64 v29, null, s27, v27, vcc_lo
	v_ashrrev_i32_e32 v26, 31, v25
	v_add_nc_u32_e32 v27, s6, v1
	s_add_i32 s6, s6, s7
	global_load_ushort v24, v[28:29], off
	s_ashr_i32 s6, s6, 4
	v_lshlrev_b64 v[25:26], 2, v[25:26]
	v_add_nc_u32_e32 v29, s6, v3
	v_ashrrev_i32_e32 v28, 31, v27
	s_mul_i32 s6, s20, s0
	s_ashr_i32 s7, s6, 31
	v_ashrrev_i32_e32 v30, 31, v29
	v_add_co_u32 v25, vcc_lo, s28, v25
	s_lshr_b32 s7, s7, 28
	v_add_co_ci_u32_e64 v26, null, s29, v26, vcc_lo
	v_lshlrev_b64 v[27:28], 1, v[27:28]
	s_add_i32 s7, s6, s7
	v_lshlrev_b64 v[29:30], 2, v[29:30]
	s_ashr_i32 s7, s7, 4
	global_load_dword v25, v[25:26], off
	v_add_nc_u32_e32 v26, s7, v3
	s_mul_i32 s7, s21, s0
	v_add_co_u32 v31, vcc_lo, s26, v27
	s_ashr_i32 s8, s7, 31
	v_add_co_ci_u32_e64 v32, null, s27, v28, vcc_lo
	v_add_co_u32 v28, vcc_lo, s28, v29
	s_lshr_b32 s8, s8, 28
	v_add_co_ci_u32_e64 v29, null, s29, v30, vcc_lo
	s_add_i32 s8, s7, s8
	v_ashrrev_i32_e32 v27, 31, v26
	s_ashr_i32 s8, s8, 4
	global_load_dword v37, v[28:29], off
	v_add_nc_u32_e32 v29, s8, v3
	s_ashr_i32 s8, s9, 31
	v_lshlrev_b64 v[33:34], 2, v[26:27]
	global_load_ushort v26, v[31:32], off
	v_add_nc_u32_e32 v31, s6, v1
	v_ashrrev_i32_e32 v30, 31, v29
	s_lshr_b32 s6, s8, 28
	s_mul_i32 s8, s23, s0
	v_add_co_u32 v27, vcc_lo, s28, v33
	v_lshlrev_b64 v[29:30], 2, v[29:30]
	v_add_co_ci_u32_e64 v28, null, s29, v34, vcc_lo
	s_add_i32 s6, s9, s6
	v_add_nc_u32_e32 v33, s7, v1
	s_ashr_i32 s6, s6, 4
	v_add_co_u32 v29, vcc_lo, s28, v29
	v_add_co_ci_u32_e64 v30, null, s29, v30, vcc_lo
	global_load_dword v38, v[27:28], off
	v_ashrrev_i32_e32 v32, 31, v31
	v_ashrrev_i32_e32 v34, 31, v33
	global_load_dword v39, v[29:30], off
	v_add_nc_u32_e32 v27, s6, v3
	s_ashr_i32 s6, s8, 31
	v_lshlrev_b64 v[31:32], 1, v[31:32]
	s_lshr_b32 s6, s6, 28
	v_lshlrev_b64 v[33:34], 1, v[33:34]
	s_add_i32 s6, s8, s6
	v_ashrrev_i32_e32 v28, 31, v27
	s_ashr_i32 s6, s6, 4
	v_add_nc_u32_e32 v35, s6, v3
	v_lshlrev_b32_e32 v3, 1, v0
	v_lshlrev_b64 v[27:28], 2, v[27:28]
	s_waitcnt vmcnt(26)
	v_bfe_u32 v44, v2, 2, 2
	v_bfe_u32 v45, v2, 4, 2
	v_ashrrev_i32_e32 v36, 31, v35
	v_and_b32_e32 v42, 30, v3
	v_and_b32_e32 v3, 3, v2
	v_add_co_u32 v27, vcc_lo, s28, v27
	v_lshlrev_b64 v[29:30], 2, v[35:36]
	v_add_co_ci_u32_e64 v28, null, s29, v28, vcc_lo
	v_add_nc_u32_e32 v35, s9, v1
	v_bfe_u32 v46, v2, 6, 2
	v_sub_nc_u32_e32 v3, v3, v43
	global_load_dword v40, v[27:28], off
	v_add_co_u32 v27, vcc_lo, s28, v29
	v_add_co_ci_u32_e64 v28, null, s29, v30, vcc_lo
	v_ashrrev_i32_e32 v36, 31, v35
	v_add_co_u32 v29, vcc_lo, s26, v31
	v_add_nc_u32_e32 v31, s8, v1
	v_add_co_ci_u32_e64 v30, null, s27, v32, vcc_lo
	global_load_dword v41, v[27:28], off
	v_add_co_u32 v27, vcc_lo, s26, v33
	v_add_co_ci_u32_e64 v28, null, s27, v34, vcc_lo
	v_lshlrev_b64 v[33:34], 1, v[35:36]
	v_ashrrev_i32_e32 v32, 31, v31
	s_clause 0x1
	global_load_ushort v35, v[29:30], off
	global_load_ushort v36, v[27:28], off
	v_sub_nc_u32_e32 v44, v44, v43
	v_sub_nc_u32_e32 v45, v45, v43
	;; [unrolled: 1-line block ×3, first 2 shown]
	v_add_co_u32 v27, vcc_lo, s26, v33
	v_lshlrev_b64 v[29:30], 1, v[31:32]
	v_add_co_ci_u32_e64 v28, null, s27, v34, vcc_lo
	v_bfe_u32 v47, v2, 8, 2
	v_bfe_u32 v48, v2, 10, 2
	;; [unrolled: 1-line block ×3, first 2 shown]
	global_load_ushort v33, v[27:28], off
	v_add_co_u32 v27, vcc_lo, s26, v29
	v_add_co_ci_u32_e64 v28, null, s27, v30, vcc_lo
	v_sub_nc_u32_e32 v47, v47, v43
	v_sub_nc_u32_e32 v48, v48, v43
	global_load_ushort v34, v[27:28], off
	v_mad_u64_u32 v[27:28], null, s0, s2, v[1:2]
	s_lshl_b64 s[0:1], s[0:1], 1
	v_ashrrev_i32_e32 v28, 31, v27
	v_lshlrev_b64 v[27:28], 1, v[27:28]
	v_add_co_u32 v0, vcc_lo, s4, v27
	v_add_co_ci_u32_e64 v1, null, s5, v28, vcc_lo
	s_waitcnt vmcnt(29)
	v_bfe_u32 v7, v7, v42, 2
	s_waitcnt vmcnt(28)
	v_bfe_u32 v8, v8, v42, 2
	v_add_co_u32 v27, vcc_lo, v0, s0
	v_add_co_ci_u32_e64 v28, null, s1, v1, vcc_lo
	v_sub_nc_u32_e32 v3, v3, v7
	v_sub_nc_u32_e32 v7, v44, v8
	v_add_co_u32 v29, vcc_lo, v27, s0
	v_add_co_ci_u32_e64 v30, null, s1, v28, vcc_lo
	v_cvt_f32_i32_e32 v3, v3
	v_cvt_f32_i32_e32 v7, v7
	v_add_co_u32 v31, vcc_lo, v29, s0
	v_add_co_ci_u32_e64 v32, null, s1, v30, vcc_lo
	s_waitcnt vmcnt(26)
	v_bfe_u32 v9, v9, v42, 2
	v_cvt_f16_f32_e32 v3, v3
	v_cvt_f16_f32_e32 v7, v7
	v_sub_nc_u32_e32 v8, v45, v9
	v_mul_f16_e32 v3, v4, v3
	v_mul_f16_e32 v4, v5, v7
	v_cvt_f32_i32_e32 v8, v8
	v_cvt_f16_f32_e32 v8, v8
	v_mul_f16_e32 v5, v6, v8
	s_waitcnt vmcnt(24)
	v_bfe_u32 v11, v11, v42, 2
	s_waitcnt vmcnt(22)
	v_bfe_u32 v14, v14, v42, 2
	v_sub_nc_u32_e32 v9, v46, v11
	v_sub_nc_u32_e32 v14, v47, v14
	v_cvt_f32_i32_e32 v9, v9
	v_cvt_f32_i32_e32 v7, v14
	v_cvt_f16_f32_e32 v9, v9
	v_mul_f16_e32 v6, v10, v9
	global_store_short v[0:1], v3, off
	global_store_short v[27:28], v4, off
	;; [unrolled: 1-line block ×4, first 2 shown]
	v_cvt_f16_f32_e32 v3, v7
	v_sub_nc_u32_e32 v6, v49, v43
	v_bfe_u32 v7, v2, 14, 2
	v_add_co_u32 v0, vcc_lo, v31, s0
	v_bfe_u32 v10, v2, 16, 2
	v_add_co_ci_u32_e64 v1, null, s1, v32, vcc_lo
	s_waitcnt vmcnt(20)
	v_bfe_u32 v11, v16, v42, 2
	v_sub_nc_u32_e32 v7, v7, v43
	v_mul_f16_e32 v8, v13, v3
	v_add_co_u32 v3, vcc_lo, v0, s0
	v_sub_nc_u32_e32 v11, v48, v11
	v_sub_nc_u32_e32 v10, v10, v43
	v_cvt_f32_i32_e32 v4, v11
	v_cvt_f16_f32_e32 v9, v4
	v_add_co_ci_u32_e64 v4, null, s1, v1, vcc_lo
	v_mul_f16_e32 v9, v12, v9
	global_store_short v[0:1], v8, off
	global_store_short v[3:4], v9, off
	v_add_co_u32 v0, vcc_lo, v3, s0
	v_bfe_u32 v3, v2, 18, 2
	v_add_co_ci_u32_e64 v1, null, s1, v4, vcc_lo
	s_waitcnt vmcnt(18)
	v_bfe_u32 v5, v18, v42, 2
	v_sub_nc_u32_e32 v9, v3, v43
	v_add_co_u32 v3, vcc_lo, v0, s0
	v_sub_nc_u32_e32 v5, v6, v5
	v_add_co_ci_u32_e64 v4, null, s1, v1, vcc_lo
	v_cvt_f32_i32_e32 v5, v5
	v_cvt_f16_f32_e32 v5, v5
	v_mul_f16_e32 v8, v15, v5
	s_waitcnt vmcnt(16)
	v_bfe_u32 v6, v21, v42, 2
	v_sub_nc_u32_e32 v6, v7, v6
	v_cvt_f32_i32_e32 v6, v6
	s_waitcnt vmcnt(14)
	v_bfe_u32 v7, v20, v42, 2
	v_cvt_f16_f32_e32 v5, v6
	v_sub_nc_u32_e32 v7, v10, v7
	v_bfe_u32 v10, v2, 20, 2
	v_mul_f16_e32 v11, v17, v5
	v_add_co_u32 v5, vcc_lo, v3, s0
	v_cvt_f32_i32_e32 v6, v7
	s_waitcnt vmcnt(12)
	v_bfe_u32 v7, v23, v42, 2
	v_sub_nc_u32_e32 v10, v10, v43
	v_cvt_f16_f32_e32 v12, v6
	v_sub_nc_u32_e32 v7, v9, v7
	v_add_co_ci_u32_e64 v6, null, s1, v4, vcc_lo
	v_mul_f16_e32 v12, v19, v12
	v_cvt_f32_i32_e32 v7, v7
	global_store_short v[0:1], v8, off
	global_store_short v[3:4], v11, off
	;; [unrolled: 1-line block ×3, first 2 shown]
	v_add_co_u32 v0, vcc_lo, v5, s0
	v_cvt_f16_f32_e32 v3, v7
	v_bfe_u32 v7, v2, 22, 2
	v_add_co_ci_u32_e64 v1, null, s1, v6, vcc_lo
	v_mul_f16_e32 v5, v22, v3
	v_sub_nc_u32_e32 v7, v7, v43
	v_add_co_u32 v3, vcc_lo, v0, s0
	s_waitcnt vmcnt(10)
	v_bfe_u32 v9, v25, v42, 2
	global_store_short v[0:1], v5, off
	v_bfe_u32 v0, v2, 26, 2
	v_sub_nc_u32_e32 v9, v10, v9
	v_cvt_f32_i32_e32 v4, v9
	v_bfe_u32 v9, v2, 24, 2
	v_cvt_f16_f32_e32 v6, v4
	s_waitcnt vmcnt(9)
	v_bfe_u32 v8, v37, v42, 2
	v_add_co_ci_u32_e64 v4, null, s1, v1, vcc_lo
	v_sub_nc_u32_e32 v9, v9, v43
	v_mul_f16_e32 v6, v24, v6
	v_sub_nc_u32_e32 v7, v7, v8
	global_store_short v[3:4], v6, off
	v_cvt_f32_i32_e32 v5, v7
	s_waitcnt vmcnt(7)
	v_bfe_u32 v8, v38, v42, 2
	s_waitcnt vmcnt(6)
	v_bfe_u32 v7, v39, v42, 2
	v_sub_nc_u32_e32 v6, v9, v8
	v_sub_nc_u32_e32 v8, v0, v43
	v_add_co_u32 v0, vcc_lo, v3, s0
	v_bfe_u32 v3, v2, 28, 2
	v_add_co_ci_u32_e64 v1, null, s1, v4, vcc_lo
	v_cvt_f16_f32_e32 v4, v5
	v_cvt_f32_i32_e32 v5, v6
	v_sub_nc_u32_e32 v6, v8, v7
	v_sub_nc_u32_e32 v3, v3, v43
	v_lshrrev_b32_e32 v2, 30, v2
	v_mul_f16_e32 v10, v26, v4
	v_cvt_f16_f32_e32 v4, v5
	v_cvt_f32_i32_e32 v5, v6
	v_sub_nc_u32_e32 v8, v2, v43
	v_add_co_u32 v2, vcc_lo, v0, s0
	v_cvt_f16_f32_e32 v9, v5
	s_waitcnt vmcnt(5)
	v_bfe_u32 v7, v40, v42, 2
	v_sub_nc_u32_e32 v6, v3, v7
	v_add_co_ci_u32_e64 v3, null, s1, v1, vcc_lo
	v_cvt_f32_i32_e32 v6, v6
	s_waitcnt vmcnt(4)
	v_bfe_u32 v7, v41, v42, 2
	v_sub_nc_u32_e32 v7, v8, v7
	s_waitcnt vmcnt(3)
	v_mul_f16_e32 v11, v35, v4
	v_add_co_u32 v4, vcc_lo, v2, s0
	v_add_co_ci_u32_e64 v5, null, s1, v3, vcc_lo
	s_waitcnt vmcnt(2)
	v_mul_f16_e32 v12, v36, v9
	v_cvt_f32_i32_e32 v9, v7
	v_cvt_f16_f32_e32 v8, v6
	v_add_co_u32 v6, vcc_lo, v4, s0
	v_add_co_ci_u32_e64 v7, null, s1, v5, vcc_lo
	v_cvt_f16_f32_e32 v14, v9
	s_waitcnt vmcnt(1)
	v_mul_f16_e32 v13, v33, v8
	v_add_co_u32 v8, vcc_lo, v6, s0
	v_add_co_ci_u32_e64 v9, null, s1, v7, vcc_lo
	s_waitcnt vmcnt(0)
	v_mul_f16_e32 v14, v34, v14
	global_store_short v[0:1], v10, off
	global_store_short v[2:3], v11, off
	;; [unrolled: 1-line block ×5, first 2 shown]
.LBB48_2:
	s_endpgm
	.section	.rodata,"a",@progbits
	.p2align	6, 0x0
	.amdhsa_kernel _ZN4vllm4gptq23reconstruct_gptq_kernelINS0_17MatrixView_q2_rowELi2EEEvPKjPK6__halfS4_PKiiiibPS5_
		.amdhsa_group_segment_fixed_size 0
		.amdhsa_private_segment_fixed_size 0
		.amdhsa_kernarg_size 56
		.amdhsa_user_sgpr_count 6
		.amdhsa_user_sgpr_private_segment_buffer 1
		.amdhsa_user_sgpr_dispatch_ptr 0
		.amdhsa_user_sgpr_queue_ptr 0
		.amdhsa_user_sgpr_kernarg_segment_ptr 1
		.amdhsa_user_sgpr_dispatch_id 0
		.amdhsa_user_sgpr_flat_scratch_init 0
		.amdhsa_user_sgpr_private_segment_size 0
		.amdhsa_wavefront_size32 1
		.amdhsa_uses_dynamic_stack 0
		.amdhsa_system_sgpr_private_segment_wavefront_offset 0
		.amdhsa_system_sgpr_workgroup_id_x 1
		.amdhsa_system_sgpr_workgroup_id_y 1
		.amdhsa_system_sgpr_workgroup_id_z 0
		.amdhsa_system_sgpr_workgroup_info 0
		.amdhsa_system_vgpr_workitem_id 0
		.amdhsa_next_free_vgpr 50
		.amdhsa_next_free_sgpr 32
		.amdhsa_reserve_vcc 1
		.amdhsa_reserve_flat_scratch 0
		.amdhsa_float_round_mode_32 0
		.amdhsa_float_round_mode_16_64 0
		.amdhsa_float_denorm_mode_32 3
		.amdhsa_float_denorm_mode_16_64 3
		.amdhsa_dx10_clamp 1
		.amdhsa_ieee_mode 1
		.amdhsa_fp16_overflow 0
		.amdhsa_workgroup_processor_mode 1
		.amdhsa_memory_ordered 1
		.amdhsa_forward_progress 1
		.amdhsa_shared_vgpr_count 0
		.amdhsa_exception_fp_ieee_invalid_op 0
		.amdhsa_exception_fp_denorm_src 0
		.amdhsa_exception_fp_ieee_div_zero 0
		.amdhsa_exception_fp_ieee_overflow 0
		.amdhsa_exception_fp_ieee_underflow 0
		.amdhsa_exception_fp_ieee_inexact 0
		.amdhsa_exception_int_div_zero 0
	.end_amdhsa_kernel
	.section	.text._ZN4vllm4gptq23reconstruct_gptq_kernelINS0_17MatrixView_q2_rowELi2EEEvPKjPK6__halfS4_PKiiiibPS5_,"axG",@progbits,_ZN4vllm4gptq23reconstruct_gptq_kernelINS0_17MatrixView_q2_rowELi2EEEvPKjPK6__halfS4_PKiiiibPS5_,comdat
.Lfunc_end48:
	.size	_ZN4vllm4gptq23reconstruct_gptq_kernelINS0_17MatrixView_q2_rowELi2EEEvPKjPK6__halfS4_PKiiiibPS5_, .Lfunc_end48-_ZN4vllm4gptq23reconstruct_gptq_kernelINS0_17MatrixView_q2_rowELi2EEEvPKjPK6__halfS4_PKiiiibPS5_
                                        ; -- End function
	.set _ZN4vllm4gptq23reconstruct_gptq_kernelINS0_17MatrixView_q2_rowELi2EEEvPKjPK6__halfS4_PKiiiibPS5_.num_vgpr, 50
	.set _ZN4vllm4gptq23reconstruct_gptq_kernelINS0_17MatrixView_q2_rowELi2EEEvPKjPK6__halfS4_PKiiiibPS5_.num_agpr, 0
	.set _ZN4vllm4gptq23reconstruct_gptq_kernelINS0_17MatrixView_q2_rowELi2EEEvPKjPK6__halfS4_PKiiiibPS5_.numbered_sgpr, 32
	.set _ZN4vllm4gptq23reconstruct_gptq_kernelINS0_17MatrixView_q2_rowELi2EEEvPKjPK6__halfS4_PKiiiibPS5_.num_named_barrier, 0
	.set _ZN4vllm4gptq23reconstruct_gptq_kernelINS0_17MatrixView_q2_rowELi2EEEvPKjPK6__halfS4_PKiiiibPS5_.private_seg_size, 0
	.set _ZN4vllm4gptq23reconstruct_gptq_kernelINS0_17MatrixView_q2_rowELi2EEEvPKjPK6__halfS4_PKiiiibPS5_.uses_vcc, 1
	.set _ZN4vllm4gptq23reconstruct_gptq_kernelINS0_17MatrixView_q2_rowELi2EEEvPKjPK6__halfS4_PKiiiibPS5_.uses_flat_scratch, 0
	.set _ZN4vllm4gptq23reconstruct_gptq_kernelINS0_17MatrixView_q2_rowELi2EEEvPKjPK6__halfS4_PKiiiibPS5_.has_dyn_sized_stack, 0
	.set _ZN4vllm4gptq23reconstruct_gptq_kernelINS0_17MatrixView_q2_rowELi2EEEvPKjPK6__halfS4_PKiiiibPS5_.has_recursion, 0
	.set _ZN4vllm4gptq23reconstruct_gptq_kernelINS0_17MatrixView_q2_rowELi2EEEvPKjPK6__halfS4_PKiiiibPS5_.has_indirect_call, 0
	.section	.AMDGPU.csdata,"",@progbits
; Kernel info:
; codeLenInByte = 2876
; TotalNumSgprs: 34
; NumVgprs: 50
; ScratchSize: 0
; MemoryBound: 0
; FloatMode: 240
; IeeeMode: 1
; LDSByteSize: 0 bytes/workgroup (compile time only)
; SGPRBlocks: 0
; VGPRBlocks: 6
; NumSGPRsForWavesPerEU: 34
; NumVGPRsForWavesPerEU: 50
; Occupancy: 16
; WaveLimiterHint : 1
; COMPUTE_PGM_RSRC2:SCRATCH_EN: 0
; COMPUTE_PGM_RSRC2:USER_SGPR: 6
; COMPUTE_PGM_RSRC2:TRAP_HANDLER: 0
; COMPUTE_PGM_RSRC2:TGID_X_EN: 1
; COMPUTE_PGM_RSRC2:TGID_Y_EN: 1
; COMPUTE_PGM_RSRC2:TGID_Z_EN: 0
; COMPUTE_PGM_RSRC2:TIDIG_COMP_CNT: 0
	.section	.text._ZN4vllm4gptq23reconstruct_gptq_kernelINS0_17MatrixView_q8_rowELi8EEEvPKjPK6__halfS4_PKiiiibPS5_,"axG",@progbits,_ZN4vllm4gptq23reconstruct_gptq_kernelINS0_17MatrixView_q8_rowELi8EEEvPKjPK6__halfS4_PKiiiibPS5_,comdat
	.protected	_ZN4vllm4gptq23reconstruct_gptq_kernelINS0_17MatrixView_q8_rowELi8EEEvPKjPK6__halfS4_PKiiiibPS5_ ; -- Begin function _ZN4vllm4gptq23reconstruct_gptq_kernelINS0_17MatrixView_q8_rowELi8EEEvPKjPK6__halfS4_PKiiiibPS5_
	.globl	_ZN4vllm4gptq23reconstruct_gptq_kernelINS0_17MatrixView_q8_rowELi8EEEvPKjPK6__halfS4_PKiiiibPS5_
	.p2align	8
	.type	_ZN4vllm4gptq23reconstruct_gptq_kernelINS0_17MatrixView_q8_rowELi8EEEvPKjPK6__halfS4_PKiiiibPS5_,@function
_ZN4vllm4gptq23reconstruct_gptq_kernelINS0_17MatrixView_q8_rowELi8EEEvPKjPK6__halfS4_PKiiiibPS5_: ; @_ZN4vllm4gptq23reconstruct_gptq_kernelINS0_17MatrixView_q8_rowELi8EEEvPKjPK6__halfS4_PKiiiibPS5_
; %bb.0:
	s_load_dword s16, s[4:5], 0x24
	v_lshl_add_u32 v1, s6, 7, v0
	s_mov_b32 s0, exec_lo
	s_waitcnt lgkmcnt(0)
	v_cmpx_gt_u32_e64 s16, v1
	s_cbranch_execz .LBB49_2
; %bb.1:
	s_clause 0x1
	s_load_dword s0, s[4:5], 0x2c
	s_load_dwordx8 s[8:15], s[4:5], 0x0
	v_mad_u64_u32 v[2:3], null, s16, s7, v[1:2]
	v_ashrrev_i32_e32 v4, 31, v1
	v_mov_b32_e32 v3, 0
	v_lshlrev_b32_e32 v0, 3, v0
	v_lshrrev_b32_e32 v4, 30, v4
	v_lshlrev_b64 v[2:3], 2, v[2:3]
	v_add_nc_u32_e32 v4, v1, v4
	v_ashrrev_i32_e32 v5, 2, v4
	s_waitcnt lgkmcnt(0)
	s_bitcmp1_b32 s0, 0
	v_add_co_u32 v2, vcc_lo, s8, v2
	s_cselect_b32 s6, -1, 0
	s_lshl_b32 s0, s7, 2
	v_add_co_ci_u32_e64 v3, null, s9, v3, vcc_lo
	s_and_b32 s17, s0, 0x1ffffffc
	s_lshl_b32 s0, s17, 2
	global_load_dword v16, v[2:3], off
	s_load_dwordx4 s[0:3], s[14:15], s0 offset:0x0
	s_waitcnt lgkmcnt(0)
	s_mul_i32 s0, s0, s16
	s_mul_i32 s1, s1, s16
	s_ashr_i32 s7, s0, 31
	s_mul_i32 s2, s2, s16
	s_ashr_i32 s8, s1, 31
	s_lshr_b32 s7, s7, 30
	s_mul_i32 s3, s3, s16
	s_ashr_i32 s9, s2, 31
	s_lshr_b32 s8, s8, 30
	s_add_i32 s7, s0, s7
	s_ashr_i32 s14, s3, 31
	s_lshr_b32 s9, s9, 30
	s_add_i32 s8, s1, s8
	;; [unrolled: 3-line block ×3, first 2 shown]
	s_ashr_i32 s8, s8, 2
	v_add_nc_u32_e32 v2, s7, v5
	s_add_i32 s14, s3, s14
	s_ashr_i32 s9, s9, 2
	v_add_nc_u32_e32 v4, s8, v5
	s_ashr_i32 s7, s14, 2
	v_add_nc_u32_e32 v6, s9, v5
	v_ashrrev_i32_e32 v3, 31, v2
	v_add_nc_u32_e32 v8, s7, v5
	v_ashrrev_i32_e32 v5, 31, v4
	;; [unrolled: 2-line block ×3, first 2 shown]
	v_lshlrev_b64 v[2:3], 2, v[2:3]
	v_ashrrev_i32_e32 v9, 31, v8
	v_lshlrev_b64 v[4:5], 2, v[4:5]
	v_add_nc_u32_e32 v12, s1, v1
	v_lshlrev_b64 v[6:7], 2, v[6:7]
	v_add_nc_u32_e32 v14, s2, v1
	v_lshlrev_b64 v[8:9], 2, v[8:9]
	v_add_co_u32 v2, vcc_lo, s12, v2
	v_add_co_ci_u32_e64 v3, null, s13, v3, vcc_lo
	v_add_co_u32 v4, vcc_lo, s12, v4
	v_add_co_ci_u32_e64 v5, null, s13, v5, vcc_lo
	;; [unrolled: 2-line block ×4, first 2 shown]
	v_ashrrev_i32_e32 v11, 31, v10
	s_clause 0x3
	global_load_dword v17, v[2:3], off
	global_load_dword v18, v[4:5], off
	global_load_dword v19, v[6:7], off
	global_load_dword v20, v[8:9], off
	v_add_nc_u32_e32 v2, s3, v1
	v_ashrrev_i32_e32 v13, 31, v12
	v_ashrrev_i32_e32 v15, 31, v14
	v_lshlrev_b64 v[4:5], 1, v[10:11]
	s_load_dwordx2 s[0:1], s[4:5], 0x30
	v_ashrrev_i32_e32 v3, 31, v2
	v_lshlrev_b64 v[6:7], 1, v[12:13]
	v_lshlrev_b64 v[8:9], 1, v[14:15]
	s_xor_b32 s2, s6, -1
	v_add_co_u32 v4, vcc_lo, s10, v4
	v_lshlrev_b64 v[2:3], 1, v[2:3]
	v_add_co_ci_u32_e64 v5, null, s11, v5, vcc_lo
	v_add_co_u32 v6, vcc_lo, s10, v6
	v_add_co_ci_u32_e64 v7, null, s11, v7, vcc_lo
	v_add_co_u32 v8, vcc_lo, s10, v8
	;; [unrolled: 2-line block ×3, first 2 shown]
	v_add_co_ci_u32_e64 v3, null, s11, v3, vcc_lo
	s_clause 0x3
	global_load_ushort v10, v[4:5], off
	global_load_ushort v11, v[6:7], off
	global_load_ushort v8, v[8:9], off
	global_load_ushort v9, v[2:3], off
	v_mad_u64_u32 v[1:2], null, s16, s17, v[1:2]
	v_cndmask_b32_e64 v3, 0, 1, s2
	v_and_b32_e32 v4, 24, v0
	s_ashr_i32 s17, s16, 31
	s_lshl_b64 s[2:3], s[16:17], 1
	v_ashrrev_i32_e32 v2, 31, v1
	v_lshlrev_b64 v[0:1], 1, v[1:2]
	s_waitcnt lgkmcnt(0)
	v_add_co_u32 v0, vcc_lo, s0, v0
	v_add_co_ci_u32_e64 v1, null, s1, v1, vcc_lo
	s_waitcnt vmcnt(8)
	v_sub_nc_u32_sdwa v2, v16, v3 dst_sel:DWORD dst_unused:UNUSED_PAD src0_sel:BYTE_0 src1_sel:DWORD
	v_sub_nc_u32_sdwa v5, v16, v3 dst_sel:DWORD dst_unused:UNUSED_PAD src0_sel:BYTE_1 src1_sel:DWORD
	v_sub_nc_u32_sdwa v6, v16, v3 dst_sel:DWORD dst_unused:UNUSED_PAD src0_sel:BYTE_2 src1_sel:DWORD
	v_sub_nc_u32_sdwa v3, v16, v3 dst_sel:DWORD dst_unused:UNUSED_PAD src0_sel:BYTE_3 src1_sel:DWORD
	s_waitcnt vmcnt(7)
	v_bfe_u32 v7, v17, v4, 8
	s_waitcnt vmcnt(6)
	v_bfe_u32 v12, v18, v4, 8
	;; [unrolled: 2-line block ×4, first 2 shown]
	v_sub_nc_u32_e32 v7, v2, v7
	v_sub_nc_u32_e32 v5, v5, v12
	;; [unrolled: 1-line block ×4, first 2 shown]
	v_add_co_u32 v2, vcc_lo, v0, s2
	v_cvt_f32_i32_e32 v7, v7
	v_cvt_f32_i32_e32 v12, v5
	;; [unrolled: 1-line block ×3, first 2 shown]
	v_add_co_ci_u32_e64 v3, null, s3, v1, vcc_lo
	v_cvt_f32_i32_e32 v13, v4
	v_cvt_f16_f32_e32 v14, v7
	v_add_co_u32 v4, vcc_lo, v2, s2
	v_cvt_f16_f32_e32 v12, v12
	v_cvt_f16_f32_e32 v15, v6
	v_add_co_ci_u32_e64 v5, null, s3, v3, vcc_lo
	v_cvt_f16_f32_e32 v13, v13
	v_add_co_u32 v6, vcc_lo, v4, s2
	s_waitcnt vmcnt(3)
	v_mul_f16_e32 v10, v10, v14
	s_waitcnt vmcnt(2)
	v_mul_f16_e32 v11, v11, v12
	;; [unrolled: 2-line block ×3, first 2 shown]
	v_add_co_ci_u32_e64 v7, null, s3, v5, vcc_lo
	s_waitcnt vmcnt(0)
	v_mul_f16_e32 v9, v9, v13
	global_store_short v[0:1], v10, off
	global_store_short v[2:3], v11, off
	;; [unrolled: 1-line block ×4, first 2 shown]
.LBB49_2:
	s_endpgm
	.section	.rodata,"a",@progbits
	.p2align	6, 0x0
	.amdhsa_kernel _ZN4vllm4gptq23reconstruct_gptq_kernelINS0_17MatrixView_q8_rowELi8EEEvPKjPK6__halfS4_PKiiiibPS5_
		.amdhsa_group_segment_fixed_size 0
		.amdhsa_private_segment_fixed_size 0
		.amdhsa_kernarg_size 56
		.amdhsa_user_sgpr_count 6
		.amdhsa_user_sgpr_private_segment_buffer 1
		.amdhsa_user_sgpr_dispatch_ptr 0
		.amdhsa_user_sgpr_queue_ptr 0
		.amdhsa_user_sgpr_kernarg_segment_ptr 1
		.amdhsa_user_sgpr_dispatch_id 0
		.amdhsa_user_sgpr_flat_scratch_init 0
		.amdhsa_user_sgpr_private_segment_size 0
		.amdhsa_wavefront_size32 1
		.amdhsa_uses_dynamic_stack 0
		.amdhsa_system_sgpr_private_segment_wavefront_offset 0
		.amdhsa_system_sgpr_workgroup_id_x 1
		.amdhsa_system_sgpr_workgroup_id_y 1
		.amdhsa_system_sgpr_workgroup_id_z 0
		.amdhsa_system_sgpr_workgroup_info 0
		.amdhsa_system_vgpr_workitem_id 0
		.amdhsa_next_free_vgpr 21
		.amdhsa_next_free_sgpr 18
		.amdhsa_reserve_vcc 1
		.amdhsa_reserve_flat_scratch 0
		.amdhsa_float_round_mode_32 0
		.amdhsa_float_round_mode_16_64 0
		.amdhsa_float_denorm_mode_32 3
		.amdhsa_float_denorm_mode_16_64 3
		.amdhsa_dx10_clamp 1
		.amdhsa_ieee_mode 1
		.amdhsa_fp16_overflow 0
		.amdhsa_workgroup_processor_mode 1
		.amdhsa_memory_ordered 1
		.amdhsa_forward_progress 1
		.amdhsa_shared_vgpr_count 0
		.amdhsa_exception_fp_ieee_invalid_op 0
		.amdhsa_exception_fp_denorm_src 0
		.amdhsa_exception_fp_ieee_div_zero 0
		.amdhsa_exception_fp_ieee_overflow 0
		.amdhsa_exception_fp_ieee_underflow 0
		.amdhsa_exception_fp_ieee_inexact 0
		.amdhsa_exception_int_div_zero 0
	.end_amdhsa_kernel
	.section	.text._ZN4vllm4gptq23reconstruct_gptq_kernelINS0_17MatrixView_q8_rowELi8EEEvPKjPK6__halfS4_PKiiiibPS5_,"axG",@progbits,_ZN4vllm4gptq23reconstruct_gptq_kernelINS0_17MatrixView_q8_rowELi8EEEvPKjPK6__halfS4_PKiiiibPS5_,comdat
.Lfunc_end49:
	.size	_ZN4vllm4gptq23reconstruct_gptq_kernelINS0_17MatrixView_q8_rowELi8EEEvPKjPK6__halfS4_PKiiiibPS5_, .Lfunc_end49-_ZN4vllm4gptq23reconstruct_gptq_kernelINS0_17MatrixView_q8_rowELi8EEEvPKjPK6__halfS4_PKiiiibPS5_
                                        ; -- End function
	.set _ZN4vllm4gptq23reconstruct_gptq_kernelINS0_17MatrixView_q8_rowELi8EEEvPKjPK6__halfS4_PKiiiibPS5_.num_vgpr, 21
	.set _ZN4vllm4gptq23reconstruct_gptq_kernelINS0_17MatrixView_q8_rowELi8EEEvPKjPK6__halfS4_PKiiiibPS5_.num_agpr, 0
	.set _ZN4vllm4gptq23reconstruct_gptq_kernelINS0_17MatrixView_q8_rowELi8EEEvPKjPK6__halfS4_PKiiiibPS5_.numbered_sgpr, 18
	.set _ZN4vllm4gptq23reconstruct_gptq_kernelINS0_17MatrixView_q8_rowELi8EEEvPKjPK6__halfS4_PKiiiibPS5_.num_named_barrier, 0
	.set _ZN4vllm4gptq23reconstruct_gptq_kernelINS0_17MatrixView_q8_rowELi8EEEvPKjPK6__halfS4_PKiiiibPS5_.private_seg_size, 0
	.set _ZN4vllm4gptq23reconstruct_gptq_kernelINS0_17MatrixView_q8_rowELi8EEEvPKjPK6__halfS4_PKiiiibPS5_.uses_vcc, 1
	.set _ZN4vllm4gptq23reconstruct_gptq_kernelINS0_17MatrixView_q8_rowELi8EEEvPKjPK6__halfS4_PKiiiibPS5_.uses_flat_scratch, 0
	.set _ZN4vllm4gptq23reconstruct_gptq_kernelINS0_17MatrixView_q8_rowELi8EEEvPKjPK6__halfS4_PKiiiibPS5_.has_dyn_sized_stack, 0
	.set _ZN4vllm4gptq23reconstruct_gptq_kernelINS0_17MatrixView_q8_rowELi8EEEvPKjPK6__halfS4_PKiiiibPS5_.has_recursion, 0
	.set _ZN4vllm4gptq23reconstruct_gptq_kernelINS0_17MatrixView_q8_rowELi8EEEvPKjPK6__halfS4_PKiiiibPS5_.has_indirect_call, 0
	.section	.AMDGPU.csdata,"",@progbits
; Kernel info:
; codeLenInByte = 888
; TotalNumSgprs: 20
; NumVgprs: 21
; ScratchSize: 0
; MemoryBound: 0
; FloatMode: 240
; IeeeMode: 1
; LDSByteSize: 0 bytes/workgroup (compile time only)
; SGPRBlocks: 0
; VGPRBlocks: 2
; NumSGPRsForWavesPerEU: 20
; NumVGPRsForWavesPerEU: 21
; Occupancy: 16
; WaveLimiterHint : 1
; COMPUTE_PGM_RSRC2:SCRATCH_EN: 0
; COMPUTE_PGM_RSRC2:USER_SGPR: 6
; COMPUTE_PGM_RSRC2:TRAP_HANDLER: 0
; COMPUTE_PGM_RSRC2:TGID_X_EN: 1
; COMPUTE_PGM_RSRC2:TGID_Y_EN: 1
; COMPUTE_PGM_RSRC2:TGID_Z_EN: 0
; COMPUTE_PGM_RSRC2:TIDIG_COMP_CNT: 0
	.text
	.p2alignl 6, 3214868480
	.fill 48, 4, 3214868480
	.section	.AMDGPU.gpr_maximums,"",@progbits
	.set amdgpu.max_num_vgpr, 0
	.set amdgpu.max_num_agpr, 0
	.set amdgpu.max_num_sgpr, 0
	.text
	.type	__hip_cuid_4856ddb38e671fb5,@object ; @__hip_cuid_4856ddb38e671fb5
	.section	.bss,"aw",@nobits
	.globl	__hip_cuid_4856ddb38e671fb5
__hip_cuid_4856ddb38e671fb5:
	.byte	0                               ; 0x0
	.size	__hip_cuid_4856ddb38e671fb5, 1

	.ident	"AMD clang version 22.0.0git (https://github.com/RadeonOpenCompute/llvm-project roc-7.2.4 26084 f58b06dce1f9c15707c5f808fd002e18c2accf7e)"
	.section	".note.GNU-stack","",@progbits
	.addrsig
	.addrsig_sym __hip_cuid_4856ddb38e671fb5
	.amdgpu_metadata
---
amdhsa.kernels:
  - .args:
      - .actual_access:  read_only
        .address_space:  global
        .offset:         0
        .size:           8
        .value_kind:     global_buffer
      - .actual_access:  read_only
        .address_space:  global
        .offset:         8
        .size:           8
        .value_kind:     global_buffer
      - .actual_access:  read_only
        .address_space:  global
        .offset:         16
        .size:           8
        .value_kind:     global_buffer
      - .actual_access:  read_only
        .address_space:  global
        .offset:         24
        .size:           8
        .value_kind:     global_buffer
      - .offset:         32
        .size:           4
        .value_kind:     by_value
      - .offset:         36
        .size:           4
        .value_kind:     by_value
      - .offset:         40
        .size:           4
        .value_kind:     by_value
      - .offset:         44
        .size:           1
        .value_kind:     by_value
      - .actual_access:  write_only
        .address_space:  global
        .offset:         48
        .size:           8
        .value_kind:     global_buffer
    .group_segment_fixed_size: 512
    .kernarg_segment_align: 8
    .kernarg_segment_size: 56
    .language:       OpenCL C
    .language_version:
      - 2
      - 0
    .max_flat_workgroup_size: 1024
    .name:           _ZN4vllm4gptq31reconstruct_exllama_8bit_kernelEPKjPKiS2_PK6__halfiiibPS5_
    .private_segment_fixed_size: 0
    .sgpr_count:     51
    .sgpr_spill_count: 0
    .symbol:         _ZN4vllm4gptq31reconstruct_exllama_8bit_kernelEPKjPKiS2_PK6__halfiiibPS5_.kd
    .uniform_work_group_size: 1
    .uses_dynamic_stack: false
    .vgpr_count:     60
    .vgpr_spill_count: 0
    .wavefront_size: 32
    .workgroup_processor_mode: 1
  - .args:
      - .actual_access:  read_only
        .address_space:  global
        .offset:         0
        .size:           8
        .value_kind:     global_buffer
      - .actual_access:  read_only
        .address_space:  global
        .offset:         8
        .size:           8
        .value_kind:     global_buffer
      - .actual_access:  read_only
        .address_space:  global
        .offset:         16
        .size:           8
        .value_kind:     global_buffer
      - .actual_access:  read_only
        .address_space:  global
        .offset:         24
        .size:           8
        .value_kind:     global_buffer
      - .offset:         32
        .size:           4
        .value_kind:     by_value
      - .offset:         36
        .size:           4
        .value_kind:     by_value
      - .offset:         40
        .size:           4
        .value_kind:     by_value
      - .offset:         44
        .size:           1
        .value_kind:     by_value
      - .actual_access:  write_only
        .address_space:  global
        .offset:         48
        .size:           8
        .value_kind:     global_buffer
    .group_segment_fixed_size: 512
    .kernarg_segment_align: 8
    .kernarg_segment_size: 56
    .language:       OpenCL C
    .language_version:
      - 2
      - 0
    .max_flat_workgroup_size: 1024
    .name:           _ZN4vllm4gptq31reconstruct_exllama_4bit_kernelEPKjPKiS2_PK6__halfiiibPS5_
    .private_segment_fixed_size: 0
    .sgpr_count:     54
    .sgpr_spill_count: 0
    .symbol:         _ZN4vllm4gptq31reconstruct_exllama_4bit_kernelEPKjPKiS2_PK6__halfiiibPS5_.kd
    .uniform_work_group_size: 1
    .uses_dynamic_stack: false
    .vgpr_count:     57
    .vgpr_spill_count: 0
    .wavefront_size: 32
    .workgroup_processor_mode: 1
  - .args:
      - .actual_access:  read_only
        .address_space:  global
        .offset:         0
        .size:           8
        .value_kind:     global_buffer
      - .actual_access:  read_only
        .address_space:  global
        .offset:         8
        .size:           8
        .value_kind:     global_buffer
      - .actual_access:  read_only
        .address_space:  global
        .offset:         16
        .size:           8
        .value_kind:     global_buffer
      - .actual_access:  read_only
        .address_space:  global
        .offset:         24
        .size:           8
        .value_kind:     global_buffer
      - .offset:         32
        .size:           4
        .value_kind:     by_value
      - .offset:         36
        .size:           4
        .value_kind:     by_value
      - .offset:         40
        .size:           4
        .value_kind:     by_value
      - .offset:         44
        .size:           1
        .value_kind:     by_value
      - .actual_access:  write_only
        .address_space:  global
        .offset:         48
        .size:           8
        .value_kind:     global_buffer
    .group_segment_fixed_size: 512
    .kernarg_segment_align: 8
    .kernarg_segment_size: 56
    .language:       OpenCL C
    .language_version:
      - 2
      - 0
    .max_flat_workgroup_size: 1024
    .name:           _ZN4vllm4gptq31reconstruct_exllama_3bit_kernelEPKjPKiS2_PK6__halfiiibPS5_
    .private_segment_fixed_size: 0
    .sgpr_count:     65
    .sgpr_spill_count: 0
    .symbol:         _ZN4vllm4gptq31reconstruct_exllama_3bit_kernelEPKjPKiS2_PK6__halfiiibPS5_.kd
    .uniform_work_group_size: 1
    .uses_dynamic_stack: false
    .vgpr_count:     124
    .vgpr_spill_count: 0
    .wavefront_size: 32
    .workgroup_processor_mode: 1
  - .args:
      - .actual_access:  read_only
        .address_space:  global
        .offset:         0
        .size:           8
        .value_kind:     global_buffer
      - .actual_access:  read_only
        .address_space:  global
        .offset:         8
        .size:           8
        .value_kind:     global_buffer
      - .actual_access:  read_only
        .address_space:  global
        .offset:         16
        .size:           8
        .value_kind:     global_buffer
      - .actual_access:  read_only
        .address_space:  global
        .offset:         24
        .size:           8
        .value_kind:     global_buffer
      - .offset:         32
        .size:           4
        .value_kind:     by_value
      - .offset:         36
        .size:           4
        .value_kind:     by_value
      - .offset:         40
        .size:           4
        .value_kind:     by_value
      - .offset:         44
        .size:           1
        .value_kind:     by_value
      - .actual_access:  write_only
        .address_space:  global
        .offset:         48
        .size:           8
        .value_kind:     global_buffer
    .group_segment_fixed_size: 512
    .kernarg_segment_align: 8
    .kernarg_segment_size: 56
    .language:       OpenCL C
    .language_version:
      - 2
      - 0
    .max_flat_workgroup_size: 1024
    .name:           _ZN4vllm4gptq31reconstruct_exllama_2bit_kernelEPKjPKiS2_PK6__halfiiibPS5_
    .private_segment_fixed_size: 0
    .sgpr_count:     56
    .sgpr_spill_count: 0
    .symbol:         _ZN4vllm4gptq31reconstruct_exllama_2bit_kernelEPKjPKiS2_PK6__halfiiibPS5_.kd
    .uniform_work_group_size: 1
    .uses_dynamic_stack: false
    .vgpr_count:     108
    .vgpr_spill_count: 0
    .wavefront_size: 32
    .workgroup_processor_mode: 1
  - .args:
      - .actual_access:  read_only
        .address_space:  global
        .offset:         0
        .size:           8
        .value_kind:     global_buffer
      - .actual_access:  read_only
        .address_space:  global
        .offset:         8
        .size:           8
        .value_kind:     global_buffer
      - .address_space:  global
        .offset:         16
        .size:           8
        .value_kind:     global_buffer
      - .actual_access:  read_only
        .address_space:  global
        .offset:         24
        .size:           8
        .value_kind:     global_buffer
      - .actual_access:  read_only
        .address_space:  global
        .offset:         32
        .size:           8
        .value_kind:     global_buffer
      - .actual_access:  read_only
        .address_space:  global
        .offset:         40
        .size:           8
        .value_kind:     global_buffer
      - .offset:         48
        .size:           4
        .value_kind:     by_value
      - .offset:         52
        .size:           4
        .value_kind:     by_value
      - .offset:         56
        .size:           4
        .value_kind:     by_value
      - .offset:         60
        .size:           1
        .value_kind:     by_value
    .group_segment_fixed_size: 26624
    .kernarg_segment_align: 8
    .kernarg_segment_size: 64
    .language:       OpenCL C
    .language_version:
      - 2
      - 0
    .max_flat_workgroup_size: 1024
    .name:           _ZN4vllm4gptq32gemm_half_q_half_alt_4bit_kernelEPK7__half2PKjP6__halfPKS6_S5_PKiiiib
    .private_segment_fixed_size: 0
    .sgpr_count:     30
    .sgpr_spill_count: 0
    .symbol:         _ZN4vllm4gptq32gemm_half_q_half_alt_4bit_kernelEPK7__half2PKjP6__halfPKS6_S5_PKiiiib.kd
    .uniform_work_group_size: 1
    .uses_dynamic_stack: false
    .vgpr_count:     31
    .vgpr_spill_count: 0
    .wavefront_size: 32
    .workgroup_processor_mode: 1
  - .args:
      - .actual_access:  read_only
        .address_space:  global
        .offset:         0
        .size:           8
        .value_kind:     global_buffer
      - .actual_access:  read_only
        .address_space:  global
        .offset:         8
        .size:           8
        .value_kind:     global_buffer
      - .address_space:  global
        .offset:         16
        .size:           8
        .value_kind:     global_buffer
      - .actual_access:  read_only
        .address_space:  global
        .offset:         24
        .size:           8
        .value_kind:     global_buffer
      - .actual_access:  read_only
        .address_space:  global
        .offset:         32
        .size:           8
        .value_kind:     global_buffer
      - .actual_access:  read_only
        .address_space:  global
        .offset:         40
        .size:           8
        .value_kind:     global_buffer
      - .offset:         48
        .size:           4
        .value_kind:     by_value
      - .offset:         52
        .size:           4
        .value_kind:     by_value
      - .offset:         56
        .size:           4
        .value_kind:     by_value
      - .offset:         60
        .size:           1
        .value_kind:     by_value
    .group_segment_fixed_size: 18432
    .kernarg_segment_align: 8
    .kernarg_segment_size: 64
    .language:       OpenCL C
    .language_version:
      - 2
      - 0
    .max_flat_workgroup_size: 1024
    .name:           _ZN4vllm4gptq32gemm_half_q_half_alt_8bit_kernelEPK7__half2PKjP6__halfPKS6_S5_PKiiiib
    .private_segment_fixed_size: 0
    .sgpr_count:     28
    .sgpr_spill_count: 0
    .symbol:         _ZN4vllm4gptq32gemm_half_q_half_alt_8bit_kernelEPK7__half2PKjP6__halfPKS6_S5_PKiiiib.kd
    .uniform_work_group_size: 1
    .uses_dynamic_stack: false
    .vgpr_count:     22
    .vgpr_spill_count: 0
    .wavefront_size: 32
    .workgroup_processor_mode: 1
  - .args:
      - .actual_access:  read_only
        .address_space:  global
        .offset:         0
        .size:           8
        .value_kind:     global_buffer
      - .actual_access:  read_only
        .address_space:  global
        .offset:         8
        .size:           8
        .value_kind:     global_buffer
      - .actual_access:  read_only
        .address_space:  global
        .offset:         16
        .size:           8
        .value_kind:     global_buffer
      - .actual_access:  read_only
        .address_space:  global
        .offset:         24
        .size:           8
        .value_kind:     global_buffer
      - .offset:         32
        .size:           4
        .value_kind:     by_value
      - .offset:         36
        .size:           4
        .value_kind:     by_value
      - .offset:         40
        .size:           4
        .value_kind:     by_value
      - .offset:         44
        .size:           1
        .value_kind:     by_value
      - .actual_access:  write_only
        .address_space:  global
        .offset:         48
        .size:           8
        .value_kind:     global_buffer
    .group_segment_fixed_size: 0
    .kernarg_segment_align: 8
    .kernarg_segment_size: 56
    .language:       OpenCL C
    .language_version:
      - 2
      - 0
    .max_flat_workgroup_size: 1024
    .name:           _ZN4vllm4gptq28reconstruct_gptq_3bit_kernelEPKjPK6__halfS2_PKiiiibPS3_
    .private_segment_fixed_size: 0
    .sgpr_count:     22
    .sgpr_spill_count: 0
    .symbol:         _ZN4vllm4gptq28reconstruct_gptq_3bit_kernelEPKjPK6__halfS2_PKiiiibPS3_.kd
    .uniform_work_group_size: 1
    .uses_dynamic_stack: false
    .vgpr_count:     18
    .vgpr_spill_count: 0
    .wavefront_size: 32
    .workgroup_processor_mode: 1
  - .args:
      - .address_space:  global
        .offset:         0
        .size:           8
        .value_kind:     global_buffer
      - .offset:         8
        .size:           4
        .value_kind:     by_value
      - .offset:         12
        .size:           4
        .value_kind:     by_value
    .group_segment_fixed_size: 0
    .kernarg_segment_align: 8
    .kernarg_segment_size: 16
    .language:       OpenCL C
    .language_version:
      - 2
      - 0
    .max_flat_workgroup_size: 1024
    .name:           _ZN4vllm4gptq19shuffle_4bit_kernelEPjii
    .private_segment_fixed_size: 0
    .sgpr_count:     9
    .sgpr_spill_count: 0
    .symbol:         _ZN4vllm4gptq19shuffle_4bit_kernelEPjii.kd
    .uniform_work_group_size: 1
    .uses_dynamic_stack: false
    .vgpr_count:     9
    .vgpr_spill_count: 0
    .wavefront_size: 32
    .workgroup_processor_mode: 1
  - .args:
      - .actual_access:  read_only
        .address_space:  global
        .offset:         0
        .size:           8
        .value_kind:     global_buffer
      - .offset:         8
        .size:           4
        .value_kind:     by_value
      - .offset:         12
        .size:           4
        .value_kind:     by_value
    .group_segment_fixed_size: 0
    .kernarg_segment_align: 8
    .kernarg_segment_size: 16
    .language:       OpenCL C
    .language_version:
      - 2
      - 0
    .max_flat_workgroup_size: 1024
    .name:           _ZN4vllm4gptq19shuffle_8bit_kernelEPjii
    .private_segment_fixed_size: 0
    .sgpr_count:     0
    .sgpr_spill_count: 0
    .symbol:         _ZN4vllm4gptq19shuffle_8bit_kernelEPjii.kd
    .uniform_work_group_size: 1
    .uses_dynamic_stack: false
    .vgpr_count:     0
    .vgpr_spill_count: 0
    .wavefront_size: 32
    .workgroup_processor_mode: 1
  - .args:
      - .address_space:  global
        .offset:         0
        .size:           8
        .value_kind:     global_buffer
      - .offset:         8
        .size:           4
        .value_kind:     by_value
      - .offset:         12
        .size:           4
        .value_kind:     by_value
    .group_segment_fixed_size: 0
    .kernarg_segment_align: 8
    .kernarg_segment_size: 16
    .language:       OpenCL C
    .language_version:
      - 2
      - 0
    .max_flat_workgroup_size: 1024
    .name:           _ZN4vllm4gptq19shuffle_2bit_kernelEPjii
    .private_segment_fixed_size: 0
    .sgpr_count:     9
    .sgpr_spill_count: 0
    .symbol:         _ZN4vllm4gptq19shuffle_2bit_kernelEPjii.kd
    .uniform_work_group_size: 1
    .uses_dynamic_stack: false
    .vgpr_count:     10
    .vgpr_spill_count: 0
    .wavefront_size: 32
    .workgroup_processor_mode: 1
  - .args:
      - .address_space:  global
        .offset:         0
        .size:           8
        .value_kind:     global_buffer
      - .offset:         8
        .size:           4
        .value_kind:     by_value
      - .offset:         12
        .size:           4
        .value_kind:     by_value
    .group_segment_fixed_size: 0
    .kernarg_segment_align: 8
    .kernarg_segment_size: 16
    .language:       OpenCL C
    .language_version:
      - 2
      - 0
    .max_flat_workgroup_size: 1024
    .name:           _ZN4vllm4gptq19shuffle_3bit_kernelEPjii
    .private_segment_fixed_size: 0
    .sgpr_count:     10
    .sgpr_spill_count: 0
    .symbol:         _ZN4vllm4gptq19shuffle_3bit_kernelEPjii.kd
    .uniform_work_group_size: 1
    .uses_dynamic_stack: false
    .vgpr_count:     39
    .vgpr_spill_count: 0
    .wavefront_size: 32
    .workgroup_processor_mode: 1
  - .args:
      - .actual_access:  read_only
        .address_space:  global
        .offset:         0
        .size:           8
        .value_kind:     global_buffer
      - .actual_access:  write_only
        .address_space:  global
        .offset:         8
        .size:           8
        .value_kind:     global_buffer
      - .actual_access:  read_only
        .address_space:  global
        .offset:         16
        .size:           8
        .value_kind:     global_buffer
      - .offset:         24
        .size:           4
        .value_kind:     by_value
    .group_segment_fixed_size: 0
    .kernarg_segment_align: 8
    .kernarg_segment_size: 28
    .language:       OpenCL C
    .language_version:
      - 2
      - 0
    .max_flat_workgroup_size: 1024
    .name:           _ZN4vllm4gptq27make_sequential_4bit_kernelEPKjPjPKii
    .private_segment_fixed_size: 0
    .sgpr_count:     24
    .sgpr_spill_count: 0
    .symbol:         _ZN4vllm4gptq27make_sequential_4bit_kernelEPKjPjPKii.kd
    .uniform_work_group_size: 1
    .uses_dynamic_stack: false
    .vgpr_count:     20
    .vgpr_spill_count: 0
    .wavefront_size: 32
    .workgroup_processor_mode: 1
  - .args:
      - .actual_access:  read_only
        .address_space:  global
        .offset:         0
        .size:           8
        .value_kind:     global_buffer
      - .actual_access:  write_only
        .address_space:  global
        .offset:         8
        .size:           8
        .value_kind:     global_buffer
      - .actual_access:  read_only
        .address_space:  global
        .offset:         16
        .size:           8
        .value_kind:     global_buffer
      - .offset:         24
        .size:           4
        .value_kind:     by_value
    .group_segment_fixed_size: 0
    .kernarg_segment_align: 8
    .kernarg_segment_size: 28
    .language:       OpenCL C
    .language_version:
      - 2
      - 0
    .max_flat_workgroup_size: 1024
    .name:           _ZN4vllm4gptq27make_sequential_2bit_kernelEPKjPjPKii
    .private_segment_fixed_size: 0
    .sgpr_count:     32
    .sgpr_spill_count: 0
    .symbol:         _ZN4vllm4gptq27make_sequential_2bit_kernelEPKjPjPKii.kd
    .uniform_work_group_size: 1
    .uses_dynamic_stack: false
    .vgpr_count:     37
    .vgpr_spill_count: 0
    .wavefront_size: 32
    .workgroup_processor_mode: 1
  - .args:
      - .actual_access:  read_only
        .address_space:  global
        .offset:         0
        .size:           8
        .value_kind:     global_buffer
      - .actual_access:  write_only
        .address_space:  global
        .offset:         8
        .size:           8
        .value_kind:     global_buffer
      - .actual_access:  read_only
        .address_space:  global
        .offset:         16
        .size:           8
        .value_kind:     global_buffer
      - .offset:         24
        .size:           4
        .value_kind:     by_value
    .group_segment_fixed_size: 0
    .kernarg_segment_align: 8
    .kernarg_segment_size: 28
    .language:       OpenCL C
    .language_version:
      - 2
      - 0
    .max_flat_workgroup_size: 1024
    .name:           _ZN4vllm4gptq27make_sequential_3bit_kernelEPKjPjPKii
    .private_segment_fixed_size: 0
    .sgpr_count:     16
    .sgpr_spill_count: 0
    .symbol:         _ZN4vllm4gptq27make_sequential_3bit_kernelEPKjPjPKii.kd
    .uniform_work_group_size: 1
    .uses_dynamic_stack: false
    .vgpr_count:     38
    .vgpr_spill_count: 0
    .wavefront_size: 32
    .workgroup_processor_mode: 1
  - .args:
      - .actual_access:  read_only
        .address_space:  global
        .offset:         0
        .size:           8
        .value_kind:     global_buffer
      - .actual_access:  write_only
        .address_space:  global
        .offset:         8
        .size:           8
        .value_kind:     global_buffer
      - .actual_access:  read_only
        .address_space:  global
        .offset:         16
        .size:           8
        .value_kind:     global_buffer
      - .offset:         24
        .size:           4
        .value_kind:     by_value
    .group_segment_fixed_size: 0
    .kernarg_segment_align: 8
    .kernarg_segment_size: 28
    .language:       OpenCL C
    .language_version:
      - 2
      - 0
    .max_flat_workgroup_size: 1024
    .name:           _ZN4vllm4gptq27make_sequential_8bit_kernelEPKjPjPKii
    .private_segment_fixed_size: 0
    .sgpr_count:     16
    .sgpr_spill_count: 0
    .symbol:         _ZN4vllm4gptq27make_sequential_8bit_kernelEPKjPjPKii.kd
    .uniform_work_group_size: 1
    .uses_dynamic_stack: false
    .vgpr_count:     11
    .vgpr_spill_count: 0
    .wavefront_size: 32
    .workgroup_processor_mode: 1
  - .args:
      - .actual_access:  read_only
        .address_space:  global
        .offset:         0
        .size:           8
        .value_kind:     global_buffer
      - .actual_access:  read_only
        .address_space:  global
        .offset:         8
        .size:           8
        .value_kind:     global_buffer
      - .actual_access:  read_only
        .address_space:  global
        .offset:         16
        .size:           8
        .value_kind:     global_buffer
      - .actual_access:  read_only
        .address_space:  global
        .offset:         24
        .size:           8
        .value_kind:     global_buffer
      - .address_space:  global
        .offset:         32
        .size:           8
        .value_kind:     global_buffer
      - .offset:         40
        .size:           4
        .value_kind:     by_value
      - .offset:         44
        .size:           4
        .value_kind:     by_value
      - .offset:         48
        .size:           4
        .value_kind:     by_value
      - .offset:         52
        .size:           4
        .value_kind:     by_value
      - .offset:         56
        .size:           1
        .value_kind:     by_value
      - .actual_access:  read_only
        .address_space:  global
        .offset:         64
        .size:           8
        .value_kind:     global_buffer
    .group_segment_fixed_size: 256
    .kernarg_segment_align: 8
    .kernarg_segment_size: 72
    .language:       OpenCL C
    .language_version:
      - 2
      - 0
    .max_flat_workgroup_size: 1024
    .name:           _ZN4vllm4gptq33gemm_half_q_half_gptq_2bit_kernelILb1ELi1EEEvPK6__halfPKjS6_S4_PS2_iiiibPKi
    .private_segment_fixed_size: 0
    .sgpr_count:     25
    .sgpr_spill_count: 0
    .symbol:         _ZN4vllm4gptq33gemm_half_q_half_gptq_2bit_kernelILb1ELi1EEEvPK6__halfPKjS6_S4_PS2_iiiibPKi.kd
    .uniform_work_group_size: 1
    .uses_dynamic_stack: false
    .vgpr_count:     63
    .vgpr_spill_count: 0
    .wavefront_size: 32
    .workgroup_processor_mode: 1
  - .args:
      - .actual_access:  read_only
        .address_space:  global
        .offset:         0
        .size:           8
        .value_kind:     global_buffer
      - .actual_access:  read_only
        .address_space:  global
        .offset:         8
        .size:           8
        .value_kind:     global_buffer
      - .actual_access:  read_only
        .address_space:  global
        .offset:         16
        .size:           8
        .value_kind:     global_buffer
      - .actual_access:  read_only
        .address_space:  global
        .offset:         24
        .size:           8
        .value_kind:     global_buffer
      - .address_space:  global
        .offset:         32
        .size:           8
        .value_kind:     global_buffer
      - .offset:         40
        .size:           4
        .value_kind:     by_value
      - .offset:         44
        .size:           4
        .value_kind:     by_value
      - .offset:         48
        .size:           4
        .value_kind:     by_value
      - .offset:         52
        .size:           4
        .value_kind:     by_value
      - .offset:         56
        .size:           1
        .value_kind:     by_value
      - .actual_access:  read_only
        .address_space:  global
        .offset:         64
        .size:           8
        .value_kind:     global_buffer
    .group_segment_fixed_size: 256
    .kernarg_segment_align: 8
    .kernarg_segment_size: 72
    .language:       OpenCL C
    .language_version:
      - 2
      - 0
    .max_flat_workgroup_size: 1024
    .name:           _ZN4vllm4gptq33gemm_half_q_half_gptq_3bit_kernelILb1ELi1EEEvPK6__halfPKjS6_S4_PS2_iiiibPKi
    .private_segment_fixed_size: 0
    .sgpr_count:     32
    .sgpr_spill_count: 0
    .symbol:         _ZN4vllm4gptq33gemm_half_q_half_gptq_3bit_kernelILb1ELi1EEEvPK6__halfPKjS6_S4_PS2_iiiibPKi.kd
    .uniform_work_group_size: 1
    .uses_dynamic_stack: false
    .vgpr_count:     79
    .vgpr_spill_count: 0
    .wavefront_size: 32
    .workgroup_processor_mode: 1
  - .args:
      - .actual_access:  read_only
        .address_space:  global
        .offset:         0
        .size:           8
        .value_kind:     global_buffer
      - .actual_access:  read_only
        .address_space:  global
        .offset:         8
        .size:           8
        .value_kind:     global_buffer
      - .actual_access:  read_only
        .address_space:  global
        .offset:         16
        .size:           8
        .value_kind:     global_buffer
      - .actual_access:  read_only
        .address_space:  global
        .offset:         24
        .size:           8
        .value_kind:     global_buffer
      - .address_space:  global
        .offset:         32
        .size:           8
        .value_kind:     global_buffer
      - .offset:         40
        .size:           4
        .value_kind:     by_value
      - .offset:         44
        .size:           4
        .value_kind:     by_value
      - .offset:         48
        .size:           4
        .value_kind:     by_value
      - .offset:         52
        .size:           4
        .value_kind:     by_value
      - .offset:         56
        .size:           1
        .value_kind:     by_value
      - .actual_access:  read_only
        .address_space:  global
        .offset:         64
        .size:           8
        .value_kind:     global_buffer
    .group_segment_fixed_size: 256
    .kernarg_segment_align: 8
    .kernarg_segment_size: 72
    .language:       OpenCL C
    .language_version:
      - 2
      - 0
    .max_flat_workgroup_size: 1024
    .name:           _ZN4vllm4gptq33gemm_half_q_half_gptq_4bit_kernelILb1ELi1EEEvPK6__halfPKjS6_S4_PS2_iiiibPKi
    .private_segment_fixed_size: 0
    .sgpr_count:     25
    .sgpr_spill_count: 0
    .symbol:         _ZN4vllm4gptq33gemm_half_q_half_gptq_4bit_kernelILb1ELi1EEEvPK6__halfPKjS6_S4_PS2_iiiibPKi.kd
    .uniform_work_group_size: 1
    .uses_dynamic_stack: false
    .vgpr_count:     46
    .vgpr_spill_count: 0
    .wavefront_size: 32
    .workgroup_processor_mode: 1
  - .args:
      - .actual_access:  read_only
        .address_space:  global
        .offset:         0
        .size:           8
        .value_kind:     global_buffer
      - .actual_access:  read_only
        .address_space:  global
        .offset:         8
        .size:           8
        .value_kind:     global_buffer
      - .actual_access:  read_only
        .address_space:  global
        .offset:         16
        .size:           8
        .value_kind:     global_buffer
      - .actual_access:  read_only
        .address_space:  global
        .offset:         24
        .size:           8
        .value_kind:     global_buffer
      - .address_space:  global
        .offset:         32
        .size:           8
        .value_kind:     global_buffer
      - .offset:         40
        .size:           4
        .value_kind:     by_value
      - .offset:         44
        .size:           4
        .value_kind:     by_value
      - .offset:         48
        .size:           4
        .value_kind:     by_value
      - .offset:         52
        .size:           4
        .value_kind:     by_value
      - .offset:         56
        .size:           1
        .value_kind:     by_value
      - .actual_access:  read_only
        .address_space:  global
        .offset:         64
        .size:           8
        .value_kind:     global_buffer
    .group_segment_fixed_size: 256
    .kernarg_segment_align: 8
    .kernarg_segment_size: 72
    .language:       OpenCL C
    .language_version:
      - 2
      - 0
    .max_flat_workgroup_size: 1024
    .name:           _ZN4vllm4gptq33gemm_half_q_half_gptq_8bit_kernelILb1ELi1EEEvPK6__halfPKjS6_S4_PS2_iiiibPKi
    .private_segment_fixed_size: 0
    .sgpr_count:     23
    .sgpr_spill_count: 0
    .symbol:         _ZN4vllm4gptq33gemm_half_q_half_gptq_8bit_kernelILb1ELi1EEEvPK6__halfPKjS6_S4_PS2_iiiibPKi.kd
    .uniform_work_group_size: 1
    .uses_dynamic_stack: false
    .vgpr_count:     78
    .vgpr_spill_count: 0
    .wavefront_size: 32
    .workgroup_processor_mode: 1
  - .args:
      - .actual_access:  read_only
        .address_space:  global
        .offset:         0
        .size:           8
        .value_kind:     global_buffer
      - .actual_access:  read_only
        .address_space:  global
        .offset:         8
        .size:           8
        .value_kind:     global_buffer
      - .actual_access:  read_only
        .address_space:  global
        .offset:         16
        .size:           8
        .value_kind:     global_buffer
      - .actual_access:  read_only
        .address_space:  global
        .offset:         24
        .size:           8
        .value_kind:     global_buffer
      - .address_space:  global
        .offset:         32
        .size:           8
        .value_kind:     global_buffer
      - .offset:         40
        .size:           4
        .value_kind:     by_value
      - .offset:         44
        .size:           4
        .value_kind:     by_value
      - .offset:         48
        .size:           4
        .value_kind:     by_value
      - .offset:         52
        .size:           4
        .value_kind:     by_value
      - .offset:         56
        .size:           1
        .value_kind:     by_value
      - .actual_access:  read_only
        .address_space:  global
        .offset:         64
        .size:           8
        .value_kind:     global_buffer
    .group_segment_fixed_size: 512
    .kernarg_segment_align: 8
    .kernarg_segment_size: 72
    .language:       OpenCL C
    .language_version:
      - 2
      - 0
    .max_flat_workgroup_size: 1024
    .name:           _ZN4vllm4gptq33gemm_half_q_half_gptq_2bit_kernelILb1ELi2EEEvPK6__halfPKjS6_S4_PS2_iiiibPKi
    .private_segment_fixed_size: 0
    .sgpr_count:     26
    .sgpr_spill_count: 0
    .symbol:         _ZN4vllm4gptq33gemm_half_q_half_gptq_2bit_kernelILb1ELi2EEEvPK6__halfPKjS6_S4_PS2_iiiibPKi.kd
    .uniform_work_group_size: 1
    .uses_dynamic_stack: false
    .vgpr_count:     61
    .vgpr_spill_count: 0
    .wavefront_size: 32
    .workgroup_processor_mode: 1
  - .args:
      - .actual_access:  read_only
        .address_space:  global
        .offset:         0
        .size:           8
        .value_kind:     global_buffer
      - .actual_access:  read_only
        .address_space:  global
        .offset:         8
        .size:           8
        .value_kind:     global_buffer
      - .actual_access:  read_only
        .address_space:  global
        .offset:         16
        .size:           8
        .value_kind:     global_buffer
      - .actual_access:  read_only
        .address_space:  global
        .offset:         24
        .size:           8
        .value_kind:     global_buffer
      - .address_space:  global
        .offset:         32
        .size:           8
        .value_kind:     global_buffer
      - .offset:         40
        .size:           4
        .value_kind:     by_value
      - .offset:         44
        .size:           4
        .value_kind:     by_value
      - .offset:         48
        .size:           4
        .value_kind:     by_value
      - .offset:         52
        .size:           4
        .value_kind:     by_value
      - .offset:         56
        .size:           1
        .value_kind:     by_value
      - .actual_access:  read_only
        .address_space:  global
        .offset:         64
        .size:           8
        .value_kind:     global_buffer
    .group_segment_fixed_size: 512
    .kernarg_segment_align: 8
    .kernarg_segment_size: 72
    .language:       OpenCL C
    .language_version:
      - 2
      - 0
    .max_flat_workgroup_size: 1024
    .name:           _ZN4vllm4gptq33gemm_half_q_half_gptq_3bit_kernelILb1ELi2EEEvPK6__halfPKjS6_S4_PS2_iiiibPKi
    .private_segment_fixed_size: 0
    .sgpr_count:     32
    .sgpr_spill_count: 0
    .symbol:         _ZN4vllm4gptq33gemm_half_q_half_gptq_3bit_kernelILb1ELi2EEEvPK6__halfPKjS6_S4_PS2_iiiibPKi.kd
    .uniform_work_group_size: 1
    .uses_dynamic_stack: false
    .vgpr_count:     97
    .vgpr_spill_count: 0
    .wavefront_size: 32
    .workgroup_processor_mode: 1
  - .args:
      - .actual_access:  read_only
        .address_space:  global
        .offset:         0
        .size:           8
        .value_kind:     global_buffer
      - .actual_access:  read_only
        .address_space:  global
        .offset:         8
        .size:           8
        .value_kind:     global_buffer
      - .actual_access:  read_only
        .address_space:  global
        .offset:         16
        .size:           8
        .value_kind:     global_buffer
      - .actual_access:  read_only
        .address_space:  global
        .offset:         24
        .size:           8
        .value_kind:     global_buffer
      - .address_space:  global
        .offset:         32
        .size:           8
        .value_kind:     global_buffer
      - .offset:         40
        .size:           4
        .value_kind:     by_value
      - .offset:         44
        .size:           4
        .value_kind:     by_value
      - .offset:         48
        .size:           4
        .value_kind:     by_value
      - .offset:         52
        .size:           4
        .value_kind:     by_value
      - .offset:         56
        .size:           1
        .value_kind:     by_value
      - .actual_access:  read_only
        .address_space:  global
        .offset:         64
        .size:           8
        .value_kind:     global_buffer
    .group_segment_fixed_size: 512
    .kernarg_segment_align: 8
    .kernarg_segment_size: 72
    .language:       OpenCL C
    .language_version:
      - 2
      - 0
    .max_flat_workgroup_size: 1024
    .name:           _ZN4vllm4gptq33gemm_half_q_half_gptq_4bit_kernelILb1ELi2EEEvPK6__halfPKjS6_S4_PS2_iiiibPKi
    .private_segment_fixed_size: 0
    .sgpr_count:     26
    .sgpr_spill_count: 0
    .symbol:         _ZN4vllm4gptq33gemm_half_q_half_gptq_4bit_kernelILb1ELi2EEEvPK6__halfPKjS6_S4_PS2_iiiibPKi.kd
    .uniform_work_group_size: 1
    .uses_dynamic_stack: false
    .vgpr_count:     52
    .vgpr_spill_count: 0
    .wavefront_size: 32
    .workgroup_processor_mode: 1
  - .args:
      - .actual_access:  read_only
        .address_space:  global
        .offset:         0
        .size:           8
        .value_kind:     global_buffer
      - .actual_access:  read_only
        .address_space:  global
        .offset:         8
        .size:           8
        .value_kind:     global_buffer
      - .actual_access:  read_only
        .address_space:  global
        .offset:         16
        .size:           8
        .value_kind:     global_buffer
      - .actual_access:  read_only
        .address_space:  global
        .offset:         24
        .size:           8
        .value_kind:     global_buffer
      - .address_space:  global
        .offset:         32
        .size:           8
        .value_kind:     global_buffer
      - .offset:         40
        .size:           4
        .value_kind:     by_value
      - .offset:         44
        .size:           4
        .value_kind:     by_value
      - .offset:         48
        .size:           4
        .value_kind:     by_value
      - .offset:         52
        .size:           4
        .value_kind:     by_value
      - .offset:         56
        .size:           1
        .value_kind:     by_value
      - .actual_access:  read_only
        .address_space:  global
        .offset:         64
        .size:           8
        .value_kind:     global_buffer
    .group_segment_fixed_size: 512
    .kernarg_segment_align: 8
    .kernarg_segment_size: 72
    .language:       OpenCL C
    .language_version:
      - 2
      - 0
    .max_flat_workgroup_size: 1024
    .name:           _ZN4vllm4gptq33gemm_half_q_half_gptq_8bit_kernelILb1ELi2EEEvPK6__halfPKjS6_S4_PS2_iiiibPKi
    .private_segment_fixed_size: 0
    .sgpr_count:     26
    .sgpr_spill_count: 0
    .symbol:         _ZN4vllm4gptq33gemm_half_q_half_gptq_8bit_kernelILb1ELi2EEEvPK6__halfPKjS6_S4_PS2_iiiibPKi.kd
    .uniform_work_group_size: 1
    .uses_dynamic_stack: false
    .vgpr_count:     80
    .vgpr_spill_count: 0
    .wavefront_size: 32
    .workgroup_processor_mode: 1
  - .args:
      - .actual_access:  read_only
        .address_space:  global
        .offset:         0
        .size:           8
        .value_kind:     global_buffer
      - .actual_access:  read_only
        .address_space:  global
        .offset:         8
        .size:           8
        .value_kind:     global_buffer
      - .actual_access:  read_only
        .address_space:  global
        .offset:         16
        .size:           8
        .value_kind:     global_buffer
      - .actual_access:  read_only
        .address_space:  global
        .offset:         24
        .size:           8
        .value_kind:     global_buffer
      - .address_space:  global
        .offset:         32
        .size:           8
        .value_kind:     global_buffer
      - .offset:         40
        .size:           4
        .value_kind:     by_value
      - .offset:         44
        .size:           4
        .value_kind:     by_value
      - .offset:         48
        .size:           4
        .value_kind:     by_value
      - .offset:         52
        .size:           4
        .value_kind:     by_value
      - .offset:         56
        .size:           1
        .value_kind:     by_value
      - .actual_access:  read_only
        .address_space:  global
        .offset:         64
        .size:           8
        .value_kind:     global_buffer
    .group_segment_fixed_size: 768
    .kernarg_segment_align: 8
    .kernarg_segment_size: 72
    .language:       OpenCL C
    .language_version:
      - 2
      - 0
    .max_flat_workgroup_size: 1024
    .name:           _ZN4vllm4gptq33gemm_half_q_half_gptq_2bit_kernelILb1ELi3EEEvPK6__halfPKjS6_S4_PS2_iiiibPKi
    .private_segment_fixed_size: 0
    .sgpr_count:     26
    .sgpr_spill_count: 0
    .symbol:         _ZN4vllm4gptq33gemm_half_q_half_gptq_2bit_kernelILb1ELi3EEEvPK6__halfPKjS6_S4_PS2_iiiibPKi.kd
    .uniform_work_group_size: 1
    .uses_dynamic_stack: false
    .vgpr_count:     67
    .vgpr_spill_count: 0
    .wavefront_size: 32
    .workgroup_processor_mode: 1
  - .args:
      - .actual_access:  read_only
        .address_space:  global
        .offset:         0
        .size:           8
        .value_kind:     global_buffer
      - .actual_access:  read_only
        .address_space:  global
        .offset:         8
        .size:           8
        .value_kind:     global_buffer
      - .actual_access:  read_only
        .address_space:  global
        .offset:         16
        .size:           8
        .value_kind:     global_buffer
      - .actual_access:  read_only
        .address_space:  global
        .offset:         24
        .size:           8
        .value_kind:     global_buffer
      - .address_space:  global
        .offset:         32
        .size:           8
        .value_kind:     global_buffer
      - .offset:         40
        .size:           4
        .value_kind:     by_value
      - .offset:         44
        .size:           4
        .value_kind:     by_value
      - .offset:         48
        .size:           4
        .value_kind:     by_value
      - .offset:         52
        .size:           4
        .value_kind:     by_value
      - .offset:         56
        .size:           1
        .value_kind:     by_value
      - .actual_access:  read_only
        .address_space:  global
        .offset:         64
        .size:           8
        .value_kind:     global_buffer
    .group_segment_fixed_size: 768
    .kernarg_segment_align: 8
    .kernarg_segment_size: 72
    .language:       OpenCL C
    .language_version:
      - 2
      - 0
    .max_flat_workgroup_size: 1024
    .name:           _ZN4vllm4gptq33gemm_half_q_half_gptq_3bit_kernelILb1ELi3EEEvPK6__halfPKjS6_S4_PS2_iiiibPKi
    .private_segment_fixed_size: 0
    .sgpr_count:     32
    .sgpr_spill_count: 0
    .symbol:         _ZN4vllm4gptq33gemm_half_q_half_gptq_3bit_kernelILb1ELi3EEEvPK6__halfPKjS6_S4_PS2_iiiibPKi.kd
    .uniform_work_group_size: 1
    .uses_dynamic_stack: false
    .vgpr_count:     97
    .vgpr_spill_count: 0
    .wavefront_size: 32
    .workgroup_processor_mode: 1
  - .args:
      - .actual_access:  read_only
        .address_space:  global
        .offset:         0
        .size:           8
        .value_kind:     global_buffer
      - .actual_access:  read_only
        .address_space:  global
        .offset:         8
        .size:           8
        .value_kind:     global_buffer
      - .actual_access:  read_only
        .address_space:  global
        .offset:         16
        .size:           8
        .value_kind:     global_buffer
      - .actual_access:  read_only
        .address_space:  global
        .offset:         24
        .size:           8
        .value_kind:     global_buffer
      - .address_space:  global
        .offset:         32
        .size:           8
        .value_kind:     global_buffer
      - .offset:         40
        .size:           4
        .value_kind:     by_value
      - .offset:         44
        .size:           4
        .value_kind:     by_value
      - .offset:         48
        .size:           4
        .value_kind:     by_value
      - .offset:         52
        .size:           4
        .value_kind:     by_value
      - .offset:         56
        .size:           1
        .value_kind:     by_value
      - .actual_access:  read_only
        .address_space:  global
        .offset:         64
        .size:           8
        .value_kind:     global_buffer
    .group_segment_fixed_size: 768
    .kernarg_segment_align: 8
    .kernarg_segment_size: 72
    .language:       OpenCL C
    .language_version:
      - 2
      - 0
    .max_flat_workgroup_size: 1024
    .name:           _ZN4vllm4gptq33gemm_half_q_half_gptq_4bit_kernelILb1ELi3EEEvPK6__halfPKjS6_S4_PS2_iiiibPKi
    .private_segment_fixed_size: 0
    .sgpr_count:     26
    .sgpr_spill_count: 0
    .symbol:         _ZN4vllm4gptq33gemm_half_q_half_gptq_4bit_kernelILb1ELi3EEEvPK6__halfPKjS6_S4_PS2_iiiibPKi.kd
    .uniform_work_group_size: 1
    .uses_dynamic_stack: false
    .vgpr_count:     56
    .vgpr_spill_count: 0
    .wavefront_size: 32
    .workgroup_processor_mode: 1
  - .args:
      - .actual_access:  read_only
        .address_space:  global
        .offset:         0
        .size:           8
        .value_kind:     global_buffer
      - .actual_access:  read_only
        .address_space:  global
        .offset:         8
        .size:           8
        .value_kind:     global_buffer
      - .actual_access:  read_only
        .address_space:  global
        .offset:         16
        .size:           8
        .value_kind:     global_buffer
      - .actual_access:  read_only
        .address_space:  global
        .offset:         24
        .size:           8
        .value_kind:     global_buffer
      - .address_space:  global
        .offset:         32
        .size:           8
        .value_kind:     global_buffer
      - .offset:         40
        .size:           4
        .value_kind:     by_value
      - .offset:         44
        .size:           4
        .value_kind:     by_value
      - .offset:         48
        .size:           4
        .value_kind:     by_value
      - .offset:         52
        .size:           4
        .value_kind:     by_value
      - .offset:         56
        .size:           1
        .value_kind:     by_value
      - .actual_access:  read_only
        .address_space:  global
        .offset:         64
        .size:           8
        .value_kind:     global_buffer
    .group_segment_fixed_size: 768
    .kernarg_segment_align: 8
    .kernarg_segment_size: 72
    .language:       OpenCL C
    .language_version:
      - 2
      - 0
    .max_flat_workgroup_size: 1024
    .name:           _ZN4vllm4gptq33gemm_half_q_half_gptq_8bit_kernelILb1ELi3EEEvPK6__halfPKjS6_S4_PS2_iiiibPKi
    .private_segment_fixed_size: 0
    .sgpr_count:     26
    .sgpr_spill_count: 0
    .symbol:         _ZN4vllm4gptq33gemm_half_q_half_gptq_8bit_kernelILb1ELi3EEEvPK6__halfPKjS6_S4_PS2_iiiibPKi.kd
    .uniform_work_group_size: 1
    .uses_dynamic_stack: false
    .vgpr_count:     82
    .vgpr_spill_count: 0
    .wavefront_size: 32
    .workgroup_processor_mode: 1
  - .args:
      - .actual_access:  read_only
        .address_space:  global
        .offset:         0
        .size:           8
        .value_kind:     global_buffer
      - .actual_access:  read_only
        .address_space:  global
        .offset:         8
        .size:           8
        .value_kind:     global_buffer
      - .actual_access:  read_only
        .address_space:  global
        .offset:         16
        .size:           8
        .value_kind:     global_buffer
      - .actual_access:  read_only
        .address_space:  global
        .offset:         24
        .size:           8
        .value_kind:     global_buffer
      - .address_space:  global
        .offset:         32
        .size:           8
        .value_kind:     global_buffer
      - .offset:         40
        .size:           4
        .value_kind:     by_value
      - .offset:         44
        .size:           4
        .value_kind:     by_value
      - .offset:         48
        .size:           4
        .value_kind:     by_value
      - .offset:         52
        .size:           4
        .value_kind:     by_value
      - .offset:         56
        .size:           1
        .value_kind:     by_value
      - .actual_access:  read_only
        .address_space:  global
        .offset:         64
        .size:           8
        .value_kind:     global_buffer
    .group_segment_fixed_size: 1024
    .kernarg_segment_align: 8
    .kernarg_segment_size: 72
    .language:       OpenCL C
    .language_version:
      - 2
      - 0
    .max_flat_workgroup_size: 1024
    .name:           _ZN4vllm4gptq33gemm_half_q_half_gptq_2bit_kernelILb1ELi4EEEvPK6__halfPKjS6_S4_PS2_iiiibPKi
    .private_segment_fixed_size: 0
    .sgpr_count:     26
    .sgpr_spill_count: 0
    .symbol:         _ZN4vllm4gptq33gemm_half_q_half_gptq_2bit_kernelILb1ELi4EEEvPK6__halfPKjS6_S4_PS2_iiiibPKi.kd
    .uniform_work_group_size: 1
    .uses_dynamic_stack: false
    .vgpr_count:     75
    .vgpr_spill_count: 0
    .wavefront_size: 32
    .workgroup_processor_mode: 1
  - .args:
      - .actual_access:  read_only
        .address_space:  global
        .offset:         0
        .size:           8
        .value_kind:     global_buffer
      - .actual_access:  read_only
        .address_space:  global
        .offset:         8
        .size:           8
        .value_kind:     global_buffer
      - .actual_access:  read_only
        .address_space:  global
        .offset:         16
        .size:           8
        .value_kind:     global_buffer
      - .actual_access:  read_only
        .address_space:  global
        .offset:         24
        .size:           8
        .value_kind:     global_buffer
      - .address_space:  global
        .offset:         32
        .size:           8
        .value_kind:     global_buffer
      - .offset:         40
        .size:           4
        .value_kind:     by_value
      - .offset:         44
        .size:           4
        .value_kind:     by_value
      - .offset:         48
        .size:           4
        .value_kind:     by_value
      - .offset:         52
        .size:           4
        .value_kind:     by_value
      - .offset:         56
        .size:           1
        .value_kind:     by_value
      - .actual_access:  read_only
        .address_space:  global
        .offset:         64
        .size:           8
        .value_kind:     global_buffer
    .group_segment_fixed_size: 1024
    .kernarg_segment_align: 8
    .kernarg_segment_size: 72
    .language:       OpenCL C
    .language_version:
      - 2
      - 0
    .max_flat_workgroup_size: 1024
    .name:           _ZN4vllm4gptq33gemm_half_q_half_gptq_3bit_kernelILb1ELi4EEEvPK6__halfPKjS6_S4_PS2_iiiibPKi
    .private_segment_fixed_size: 0
    .sgpr_count:     32
    .sgpr_spill_count: 0
    .symbol:         _ZN4vllm4gptq33gemm_half_q_half_gptq_3bit_kernelILb1ELi4EEEvPK6__halfPKjS6_S4_PS2_iiiibPKi.kd
    .uniform_work_group_size: 1
    .uses_dynamic_stack: false
    .vgpr_count:     114
    .vgpr_spill_count: 0
    .wavefront_size: 32
    .workgroup_processor_mode: 1
  - .args:
      - .actual_access:  read_only
        .address_space:  global
        .offset:         0
        .size:           8
        .value_kind:     global_buffer
      - .actual_access:  read_only
        .address_space:  global
        .offset:         8
        .size:           8
        .value_kind:     global_buffer
      - .actual_access:  read_only
        .address_space:  global
        .offset:         16
        .size:           8
        .value_kind:     global_buffer
      - .actual_access:  read_only
        .address_space:  global
        .offset:         24
        .size:           8
        .value_kind:     global_buffer
      - .address_space:  global
        .offset:         32
        .size:           8
        .value_kind:     global_buffer
      - .offset:         40
        .size:           4
        .value_kind:     by_value
      - .offset:         44
        .size:           4
        .value_kind:     by_value
      - .offset:         48
        .size:           4
        .value_kind:     by_value
      - .offset:         52
        .size:           4
        .value_kind:     by_value
      - .offset:         56
        .size:           1
        .value_kind:     by_value
      - .actual_access:  read_only
        .address_space:  global
        .offset:         64
        .size:           8
        .value_kind:     global_buffer
    .group_segment_fixed_size: 1024
    .kernarg_segment_align: 8
    .kernarg_segment_size: 72
    .language:       OpenCL C
    .language_version:
      - 2
      - 0
    .max_flat_workgroup_size: 1024
    .name:           _ZN4vllm4gptq33gemm_half_q_half_gptq_4bit_kernelILb1ELi4EEEvPK6__halfPKjS6_S4_PS2_iiiibPKi
    .private_segment_fixed_size: 0
    .sgpr_count:     26
    .sgpr_spill_count: 0
    .symbol:         _ZN4vllm4gptq33gemm_half_q_half_gptq_4bit_kernelILb1ELi4EEEvPK6__halfPKjS6_S4_PS2_iiiibPKi.kd
    .uniform_work_group_size: 1
    .uses_dynamic_stack: false
    .vgpr_count:     60
    .vgpr_spill_count: 0
    .wavefront_size: 32
    .workgroup_processor_mode: 1
  - .args:
      - .actual_access:  read_only
        .address_space:  global
        .offset:         0
        .size:           8
        .value_kind:     global_buffer
      - .actual_access:  read_only
        .address_space:  global
        .offset:         8
        .size:           8
        .value_kind:     global_buffer
      - .actual_access:  read_only
        .address_space:  global
        .offset:         16
        .size:           8
        .value_kind:     global_buffer
      - .actual_access:  read_only
        .address_space:  global
        .offset:         24
        .size:           8
        .value_kind:     global_buffer
      - .address_space:  global
        .offset:         32
        .size:           8
        .value_kind:     global_buffer
      - .offset:         40
        .size:           4
        .value_kind:     by_value
      - .offset:         44
        .size:           4
        .value_kind:     by_value
      - .offset:         48
        .size:           4
        .value_kind:     by_value
      - .offset:         52
        .size:           4
        .value_kind:     by_value
      - .offset:         56
        .size:           1
        .value_kind:     by_value
      - .actual_access:  read_only
        .address_space:  global
        .offset:         64
        .size:           8
        .value_kind:     global_buffer
    .group_segment_fixed_size: 1024
    .kernarg_segment_align: 8
    .kernarg_segment_size: 72
    .language:       OpenCL C
    .language_version:
      - 2
      - 0
    .max_flat_workgroup_size: 1024
    .name:           _ZN4vllm4gptq33gemm_half_q_half_gptq_8bit_kernelILb1ELi4EEEvPK6__halfPKjS6_S4_PS2_iiiibPKi
    .private_segment_fixed_size: 0
    .sgpr_count:     26
    .sgpr_spill_count: 0
    .symbol:         _ZN4vllm4gptq33gemm_half_q_half_gptq_8bit_kernelILb1ELi4EEEvPK6__halfPKjS6_S4_PS2_iiiibPKi.kd
    .uniform_work_group_size: 1
    .uses_dynamic_stack: false
    .vgpr_count:     94
    .vgpr_spill_count: 0
    .wavefront_size: 32
    .workgroup_processor_mode: 1
  - .args:
      - .actual_access:  read_only
        .address_space:  global
        .offset:         0
        .size:           8
        .value_kind:     global_buffer
      - .actual_access:  read_only
        .address_space:  global
        .offset:         8
        .size:           8
        .value_kind:     global_buffer
      - .actual_access:  read_only
        .address_space:  global
        .offset:         16
        .size:           8
        .value_kind:     global_buffer
      - .actual_access:  read_only
        .address_space:  global
        .offset:         24
        .size:           8
        .value_kind:     global_buffer
      - .address_space:  global
        .offset:         32
        .size:           8
        .value_kind:     global_buffer
      - .offset:         40
        .size:           4
        .value_kind:     by_value
      - .offset:         44
        .size:           4
        .value_kind:     by_value
      - .offset:         48
        .size:           4
        .value_kind:     by_value
      - .offset:         52
        .size:           4
        .value_kind:     by_value
      - .offset:         56
        .size:           1
        .value_kind:     by_value
      - .actual_access:  read_only
        .address_space:  global
        .offset:         64
        .size:           8
        .value_kind:     global_buffer
    .group_segment_fixed_size: 1280
    .kernarg_segment_align: 8
    .kernarg_segment_size: 72
    .language:       OpenCL C
    .language_version:
      - 2
      - 0
    .max_flat_workgroup_size: 1024
    .name:           _ZN4vllm4gptq33gemm_half_q_half_gptq_2bit_kernelILb1ELi5EEEvPK6__halfPKjS6_S4_PS2_iiiibPKi
    .private_segment_fixed_size: 0
    .sgpr_count:     26
    .sgpr_spill_count: 0
    .symbol:         _ZN4vllm4gptq33gemm_half_q_half_gptq_2bit_kernelILb1ELi5EEEvPK6__halfPKjS6_S4_PS2_iiiibPKi.kd
    .uniform_work_group_size: 1
    .uses_dynamic_stack: false
    .vgpr_count:     75
    .vgpr_spill_count: 0
    .wavefront_size: 32
    .workgroup_processor_mode: 1
  - .args:
      - .actual_access:  read_only
        .address_space:  global
        .offset:         0
        .size:           8
        .value_kind:     global_buffer
      - .actual_access:  read_only
        .address_space:  global
        .offset:         8
        .size:           8
        .value_kind:     global_buffer
      - .actual_access:  read_only
        .address_space:  global
        .offset:         16
        .size:           8
        .value_kind:     global_buffer
      - .actual_access:  read_only
        .address_space:  global
        .offset:         24
        .size:           8
        .value_kind:     global_buffer
      - .address_space:  global
        .offset:         32
        .size:           8
        .value_kind:     global_buffer
      - .offset:         40
        .size:           4
        .value_kind:     by_value
      - .offset:         44
        .size:           4
        .value_kind:     by_value
      - .offset:         48
        .size:           4
        .value_kind:     by_value
      - .offset:         52
        .size:           4
        .value_kind:     by_value
      - .offset:         56
        .size:           1
        .value_kind:     by_value
      - .actual_access:  read_only
        .address_space:  global
        .offset:         64
        .size:           8
        .value_kind:     global_buffer
    .group_segment_fixed_size: 1280
    .kernarg_segment_align: 8
    .kernarg_segment_size: 72
    .language:       OpenCL C
    .language_version:
      - 2
      - 0
    .max_flat_workgroup_size: 1024
    .name:           _ZN4vllm4gptq33gemm_half_q_half_gptq_3bit_kernelILb1ELi5EEEvPK6__halfPKjS6_S4_PS2_iiiibPKi
    .private_segment_fixed_size: 0
    .sgpr_count:     32
    .sgpr_spill_count: 0
    .symbol:         _ZN4vllm4gptq33gemm_half_q_half_gptq_3bit_kernelILb1ELi5EEEvPK6__halfPKjS6_S4_PS2_iiiibPKi.kd
    .uniform_work_group_size: 1
    .uses_dynamic_stack: false
    .vgpr_count:     109
    .vgpr_spill_count: 0
    .wavefront_size: 32
    .workgroup_processor_mode: 1
  - .args:
      - .actual_access:  read_only
        .address_space:  global
        .offset:         0
        .size:           8
        .value_kind:     global_buffer
      - .actual_access:  read_only
        .address_space:  global
        .offset:         8
        .size:           8
        .value_kind:     global_buffer
      - .actual_access:  read_only
        .address_space:  global
        .offset:         16
        .size:           8
        .value_kind:     global_buffer
      - .actual_access:  read_only
        .address_space:  global
        .offset:         24
        .size:           8
        .value_kind:     global_buffer
      - .address_space:  global
        .offset:         32
        .size:           8
        .value_kind:     global_buffer
      - .offset:         40
        .size:           4
        .value_kind:     by_value
      - .offset:         44
        .size:           4
        .value_kind:     by_value
      - .offset:         48
        .size:           4
        .value_kind:     by_value
      - .offset:         52
        .size:           4
        .value_kind:     by_value
      - .offset:         56
        .size:           1
        .value_kind:     by_value
      - .actual_access:  read_only
        .address_space:  global
        .offset:         64
        .size:           8
        .value_kind:     global_buffer
    .group_segment_fixed_size: 1280
    .kernarg_segment_align: 8
    .kernarg_segment_size: 72
    .language:       OpenCL C
    .language_version:
      - 2
      - 0
    .max_flat_workgroup_size: 1024
    .name:           _ZN4vllm4gptq33gemm_half_q_half_gptq_4bit_kernelILb1ELi5EEEvPK6__halfPKjS6_S4_PS2_iiiibPKi
    .private_segment_fixed_size: 0
    .sgpr_count:     26
    .sgpr_spill_count: 0
    .symbol:         _ZN4vllm4gptq33gemm_half_q_half_gptq_4bit_kernelILb1ELi5EEEvPK6__halfPKjS6_S4_PS2_iiiibPKi.kd
    .uniform_work_group_size: 1
    .uses_dynamic_stack: false
    .vgpr_count:     64
    .vgpr_spill_count: 0
    .wavefront_size: 32
    .workgroup_processor_mode: 1
  - .args:
      - .actual_access:  read_only
        .address_space:  global
        .offset:         0
        .size:           8
        .value_kind:     global_buffer
      - .actual_access:  read_only
        .address_space:  global
        .offset:         8
        .size:           8
        .value_kind:     global_buffer
      - .actual_access:  read_only
        .address_space:  global
        .offset:         16
        .size:           8
        .value_kind:     global_buffer
      - .actual_access:  read_only
        .address_space:  global
        .offset:         24
        .size:           8
        .value_kind:     global_buffer
      - .address_space:  global
        .offset:         32
        .size:           8
        .value_kind:     global_buffer
      - .offset:         40
        .size:           4
        .value_kind:     by_value
      - .offset:         44
        .size:           4
        .value_kind:     by_value
      - .offset:         48
        .size:           4
        .value_kind:     by_value
      - .offset:         52
        .size:           4
        .value_kind:     by_value
      - .offset:         56
        .size:           1
        .value_kind:     by_value
      - .actual_access:  read_only
        .address_space:  global
        .offset:         64
        .size:           8
        .value_kind:     global_buffer
    .group_segment_fixed_size: 1280
    .kernarg_segment_align: 8
    .kernarg_segment_size: 72
    .language:       OpenCL C
    .language_version:
      - 2
      - 0
    .max_flat_workgroup_size: 1024
    .name:           _ZN4vllm4gptq33gemm_half_q_half_gptq_8bit_kernelILb1ELi5EEEvPK6__halfPKjS6_S4_PS2_iiiibPKi
    .private_segment_fixed_size: 0
    .sgpr_count:     26
    .sgpr_spill_count: 0
    .symbol:         _ZN4vllm4gptq33gemm_half_q_half_gptq_8bit_kernelILb1ELi5EEEvPK6__halfPKjS6_S4_PS2_iiiibPKi.kd
    .uniform_work_group_size: 1
    .uses_dynamic_stack: false
    .vgpr_count:     92
    .vgpr_spill_count: 0
    .wavefront_size: 32
    .workgroup_processor_mode: 1
  - .args:
      - .actual_access:  read_only
        .address_space:  global
        .offset:         0
        .size:           8
        .value_kind:     global_buffer
      - .actual_access:  read_only
        .address_space:  global
        .offset:         8
        .size:           8
        .value_kind:     global_buffer
      - .actual_access:  read_only
        .address_space:  global
        .offset:         16
        .size:           8
        .value_kind:     global_buffer
      - .actual_access:  read_only
        .address_space:  global
        .offset:         24
        .size:           8
        .value_kind:     global_buffer
      - .address_space:  global
        .offset:         32
        .size:           8
        .value_kind:     global_buffer
      - .offset:         40
        .size:           4
        .value_kind:     by_value
      - .offset:         44
        .size:           4
        .value_kind:     by_value
      - .offset:         48
        .size:           4
        .value_kind:     by_value
      - .offset:         52
        .size:           4
        .value_kind:     by_value
      - .offset:         56
        .size:           1
        .value_kind:     by_value
      - .actual_access:  read_only
        .address_space:  global
        .offset:         64
        .size:           8
        .value_kind:     global_buffer
    .group_segment_fixed_size: 1536
    .kernarg_segment_align: 8
    .kernarg_segment_size: 72
    .language:       OpenCL C
    .language_version:
      - 2
      - 0
    .max_flat_workgroup_size: 1024
    .name:           _ZN4vllm4gptq33gemm_half_q_half_gptq_2bit_kernelILb1ELi6EEEvPK6__halfPKjS6_S4_PS2_iiiibPKi
    .private_segment_fixed_size: 0
    .sgpr_count:     26
    .sgpr_spill_count: 0
    .symbol:         _ZN4vllm4gptq33gemm_half_q_half_gptq_2bit_kernelILb1ELi6EEEvPK6__halfPKjS6_S4_PS2_iiiibPKi.kd
    .uniform_work_group_size: 1
    .uses_dynamic_stack: false
    .vgpr_count:     89
    .vgpr_spill_count: 0
    .wavefront_size: 32
    .workgroup_processor_mode: 1
  - .args:
      - .actual_access:  read_only
        .address_space:  global
        .offset:         0
        .size:           8
        .value_kind:     global_buffer
      - .actual_access:  read_only
        .address_space:  global
        .offset:         8
        .size:           8
        .value_kind:     global_buffer
      - .actual_access:  read_only
        .address_space:  global
        .offset:         16
        .size:           8
        .value_kind:     global_buffer
      - .actual_access:  read_only
        .address_space:  global
        .offset:         24
        .size:           8
        .value_kind:     global_buffer
      - .address_space:  global
        .offset:         32
        .size:           8
        .value_kind:     global_buffer
      - .offset:         40
        .size:           4
        .value_kind:     by_value
      - .offset:         44
        .size:           4
        .value_kind:     by_value
      - .offset:         48
        .size:           4
        .value_kind:     by_value
      - .offset:         52
        .size:           4
        .value_kind:     by_value
      - .offset:         56
        .size:           1
        .value_kind:     by_value
      - .actual_access:  read_only
        .address_space:  global
        .offset:         64
        .size:           8
        .value_kind:     global_buffer
    .group_segment_fixed_size: 1536
    .kernarg_segment_align: 8
    .kernarg_segment_size: 72
    .language:       OpenCL C
    .language_version:
      - 2
      - 0
    .max_flat_workgroup_size: 1024
    .name:           _ZN4vllm4gptq33gemm_half_q_half_gptq_3bit_kernelILb1ELi6EEEvPK6__halfPKjS6_S4_PS2_iiiibPKi
    .private_segment_fixed_size: 0
    .sgpr_count:     32
    .sgpr_spill_count: 0
    .symbol:         _ZN4vllm4gptq33gemm_half_q_half_gptq_3bit_kernelILb1ELi6EEEvPK6__halfPKjS6_S4_PS2_iiiibPKi.kd
    .uniform_work_group_size: 1
    .uses_dynamic_stack: false
    .vgpr_count:     115
    .vgpr_spill_count: 0
    .wavefront_size: 32
    .workgroup_processor_mode: 1
  - .args:
      - .actual_access:  read_only
        .address_space:  global
        .offset:         0
        .size:           8
        .value_kind:     global_buffer
      - .actual_access:  read_only
        .address_space:  global
        .offset:         8
        .size:           8
        .value_kind:     global_buffer
      - .actual_access:  read_only
        .address_space:  global
        .offset:         16
        .size:           8
        .value_kind:     global_buffer
      - .actual_access:  read_only
        .address_space:  global
        .offset:         24
        .size:           8
        .value_kind:     global_buffer
      - .address_space:  global
        .offset:         32
        .size:           8
        .value_kind:     global_buffer
      - .offset:         40
        .size:           4
        .value_kind:     by_value
      - .offset:         44
        .size:           4
        .value_kind:     by_value
      - .offset:         48
        .size:           4
        .value_kind:     by_value
      - .offset:         52
        .size:           4
        .value_kind:     by_value
      - .offset:         56
        .size:           1
        .value_kind:     by_value
      - .actual_access:  read_only
        .address_space:  global
        .offset:         64
        .size:           8
        .value_kind:     global_buffer
    .group_segment_fixed_size: 1536
    .kernarg_segment_align: 8
    .kernarg_segment_size: 72
    .language:       OpenCL C
    .language_version:
      - 2
      - 0
    .max_flat_workgroup_size: 1024
    .name:           _ZN4vllm4gptq33gemm_half_q_half_gptq_4bit_kernelILb1ELi6EEEvPK6__halfPKjS6_S4_PS2_iiiibPKi
    .private_segment_fixed_size: 0
    .sgpr_count:     26
    .sgpr_spill_count: 0
    .symbol:         _ZN4vllm4gptq33gemm_half_q_half_gptq_4bit_kernelILb1ELi6EEEvPK6__halfPKjS6_S4_PS2_iiiibPKi.kd
    .uniform_work_group_size: 1
    .uses_dynamic_stack: false
    .vgpr_count:     68
    .vgpr_spill_count: 0
    .wavefront_size: 32
    .workgroup_processor_mode: 1
  - .args:
      - .actual_access:  read_only
        .address_space:  global
        .offset:         0
        .size:           8
        .value_kind:     global_buffer
      - .actual_access:  read_only
        .address_space:  global
        .offset:         8
        .size:           8
        .value_kind:     global_buffer
      - .actual_access:  read_only
        .address_space:  global
        .offset:         16
        .size:           8
        .value_kind:     global_buffer
      - .actual_access:  read_only
        .address_space:  global
        .offset:         24
        .size:           8
        .value_kind:     global_buffer
      - .address_space:  global
        .offset:         32
        .size:           8
        .value_kind:     global_buffer
      - .offset:         40
        .size:           4
        .value_kind:     by_value
      - .offset:         44
        .size:           4
        .value_kind:     by_value
      - .offset:         48
        .size:           4
        .value_kind:     by_value
      - .offset:         52
        .size:           4
        .value_kind:     by_value
      - .offset:         56
        .size:           1
        .value_kind:     by_value
      - .actual_access:  read_only
        .address_space:  global
        .offset:         64
        .size:           8
        .value_kind:     global_buffer
    .group_segment_fixed_size: 1536
    .kernarg_segment_align: 8
    .kernarg_segment_size: 72
    .language:       OpenCL C
    .language_version:
      - 2
      - 0
    .max_flat_workgroup_size: 1024
    .name:           _ZN4vllm4gptq33gemm_half_q_half_gptq_8bit_kernelILb1ELi6EEEvPK6__halfPKjS6_S4_PS2_iiiibPKi
    .private_segment_fixed_size: 0
    .sgpr_count:     26
    .sgpr_spill_count: 0
    .symbol:         _ZN4vllm4gptq33gemm_half_q_half_gptq_8bit_kernelILb1ELi6EEEvPK6__halfPKjS6_S4_PS2_iiiibPKi.kd
    .uniform_work_group_size: 1
    .uses_dynamic_stack: false
    .vgpr_count:     96
    .vgpr_spill_count: 0
    .wavefront_size: 32
    .workgroup_processor_mode: 1
  - .args:
      - .actual_access:  read_only
        .address_space:  global
        .offset:         0
        .size:           8
        .value_kind:     global_buffer
      - .actual_access:  read_only
        .address_space:  global
        .offset:         8
        .size:           8
        .value_kind:     global_buffer
      - .actual_access:  read_only
        .address_space:  global
        .offset:         16
        .size:           8
        .value_kind:     global_buffer
      - .actual_access:  read_only
        .address_space:  global
        .offset:         24
        .size:           8
        .value_kind:     global_buffer
      - .address_space:  global
        .offset:         32
        .size:           8
        .value_kind:     global_buffer
      - .offset:         40
        .size:           4
        .value_kind:     by_value
      - .offset:         44
        .size:           4
        .value_kind:     by_value
      - .offset:         48
        .size:           4
        .value_kind:     by_value
      - .offset:         52
        .size:           4
        .value_kind:     by_value
      - .offset:         56
        .size:           1
        .value_kind:     by_value
      - .actual_access:  read_only
        .address_space:  global
        .offset:         64
        .size:           8
        .value_kind:     global_buffer
    .group_segment_fixed_size: 1792
    .kernarg_segment_align: 8
    .kernarg_segment_size: 72
    .language:       OpenCL C
    .language_version:
      - 2
      - 0
    .max_flat_workgroup_size: 1024
    .name:           _ZN4vllm4gptq33gemm_half_q_half_gptq_2bit_kernelILb1ELi7EEEvPK6__halfPKjS6_S4_PS2_iiiibPKi
    .private_segment_fixed_size: 0
    .sgpr_count:     26
    .sgpr_spill_count: 0
    .symbol:         _ZN4vllm4gptq33gemm_half_q_half_gptq_2bit_kernelILb1ELi7EEEvPK6__halfPKjS6_S4_PS2_iiiibPKi.kd
    .uniform_work_group_size: 1
    .uses_dynamic_stack: false
    .vgpr_count:     99
    .vgpr_spill_count: 0
    .wavefront_size: 32
    .workgroup_processor_mode: 1
  - .args:
      - .actual_access:  read_only
        .address_space:  global
        .offset:         0
        .size:           8
        .value_kind:     global_buffer
      - .actual_access:  read_only
        .address_space:  global
        .offset:         8
        .size:           8
        .value_kind:     global_buffer
      - .actual_access:  read_only
        .address_space:  global
        .offset:         16
        .size:           8
        .value_kind:     global_buffer
      - .actual_access:  read_only
        .address_space:  global
        .offset:         24
        .size:           8
        .value_kind:     global_buffer
      - .address_space:  global
        .offset:         32
        .size:           8
        .value_kind:     global_buffer
      - .offset:         40
        .size:           4
        .value_kind:     by_value
      - .offset:         44
        .size:           4
        .value_kind:     by_value
      - .offset:         48
        .size:           4
        .value_kind:     by_value
      - .offset:         52
        .size:           4
        .value_kind:     by_value
      - .offset:         56
        .size:           1
        .value_kind:     by_value
      - .actual_access:  read_only
        .address_space:  global
        .offset:         64
        .size:           8
        .value_kind:     global_buffer
    .group_segment_fixed_size: 1792
    .kernarg_segment_align: 8
    .kernarg_segment_size: 72
    .language:       OpenCL C
    .language_version:
      - 2
      - 0
    .max_flat_workgroup_size: 1024
    .name:           _ZN4vllm4gptq33gemm_half_q_half_gptq_3bit_kernelILb1ELi7EEEvPK6__halfPKjS6_S4_PS2_iiiibPKi
    .private_segment_fixed_size: 0
    .sgpr_count:     32
    .sgpr_spill_count: 0
    .symbol:         _ZN4vllm4gptq33gemm_half_q_half_gptq_3bit_kernelILb1ELi7EEEvPK6__halfPKjS6_S4_PS2_iiiibPKi.kd
    .uniform_work_group_size: 1
    .uses_dynamic_stack: false
    .vgpr_count:     124
    .vgpr_spill_count: 0
    .wavefront_size: 32
    .workgroup_processor_mode: 1
  - .args:
      - .actual_access:  read_only
        .address_space:  global
        .offset:         0
        .size:           8
        .value_kind:     global_buffer
      - .actual_access:  read_only
        .address_space:  global
        .offset:         8
        .size:           8
        .value_kind:     global_buffer
      - .actual_access:  read_only
        .address_space:  global
        .offset:         16
        .size:           8
        .value_kind:     global_buffer
      - .actual_access:  read_only
        .address_space:  global
        .offset:         24
        .size:           8
        .value_kind:     global_buffer
      - .address_space:  global
        .offset:         32
        .size:           8
        .value_kind:     global_buffer
      - .offset:         40
        .size:           4
        .value_kind:     by_value
      - .offset:         44
        .size:           4
        .value_kind:     by_value
      - .offset:         48
        .size:           4
        .value_kind:     by_value
      - .offset:         52
        .size:           4
        .value_kind:     by_value
      - .offset:         56
        .size:           1
        .value_kind:     by_value
      - .actual_access:  read_only
        .address_space:  global
        .offset:         64
        .size:           8
        .value_kind:     global_buffer
    .group_segment_fixed_size: 1792
    .kernarg_segment_align: 8
    .kernarg_segment_size: 72
    .language:       OpenCL C
    .language_version:
      - 2
      - 0
    .max_flat_workgroup_size: 1024
    .name:           _ZN4vllm4gptq33gemm_half_q_half_gptq_4bit_kernelILb1ELi7EEEvPK6__halfPKjS6_S4_PS2_iiiibPKi
    .private_segment_fixed_size: 0
    .sgpr_count:     26
    .sgpr_spill_count: 0
    .symbol:         _ZN4vllm4gptq33gemm_half_q_half_gptq_4bit_kernelILb1ELi7EEEvPK6__halfPKjS6_S4_PS2_iiiibPKi.kd
    .uniform_work_group_size: 1
    .uses_dynamic_stack: false
    .vgpr_count:     72
    .vgpr_spill_count: 0
    .wavefront_size: 32
    .workgroup_processor_mode: 1
  - .args:
      - .actual_access:  read_only
        .address_space:  global
        .offset:         0
        .size:           8
        .value_kind:     global_buffer
      - .actual_access:  read_only
        .address_space:  global
        .offset:         8
        .size:           8
        .value_kind:     global_buffer
      - .actual_access:  read_only
        .address_space:  global
        .offset:         16
        .size:           8
        .value_kind:     global_buffer
      - .actual_access:  read_only
        .address_space:  global
        .offset:         24
        .size:           8
        .value_kind:     global_buffer
      - .address_space:  global
        .offset:         32
        .size:           8
        .value_kind:     global_buffer
      - .offset:         40
        .size:           4
        .value_kind:     by_value
      - .offset:         44
        .size:           4
        .value_kind:     by_value
      - .offset:         48
        .size:           4
        .value_kind:     by_value
      - .offset:         52
        .size:           4
        .value_kind:     by_value
      - .offset:         56
        .size:           1
        .value_kind:     by_value
      - .actual_access:  read_only
        .address_space:  global
        .offset:         64
        .size:           8
        .value_kind:     global_buffer
    .group_segment_fixed_size: 1792
    .kernarg_segment_align: 8
    .kernarg_segment_size: 72
    .language:       OpenCL C
    .language_version:
      - 2
      - 0
    .max_flat_workgroup_size: 1024
    .name:           _ZN4vllm4gptq33gemm_half_q_half_gptq_8bit_kernelILb1ELi7EEEvPK6__halfPKjS6_S4_PS2_iiiibPKi
    .private_segment_fixed_size: 0
    .sgpr_count:     26
    .sgpr_spill_count: 0
    .symbol:         _ZN4vllm4gptq33gemm_half_q_half_gptq_8bit_kernelILb1ELi7EEEvPK6__halfPKjS6_S4_PS2_iiiibPKi.kd
    .uniform_work_group_size: 1
    .uses_dynamic_stack: false
    .vgpr_count:     100
    .vgpr_spill_count: 0
    .wavefront_size: 32
    .workgroup_processor_mode: 1
  - .args:
      - .actual_access:  read_only
        .address_space:  global
        .offset:         0
        .size:           8
        .value_kind:     global_buffer
      - .actual_access:  read_only
        .address_space:  global
        .offset:         8
        .size:           8
        .value_kind:     global_buffer
      - .actual_access:  read_only
        .address_space:  global
        .offset:         16
        .size:           8
        .value_kind:     global_buffer
      - .actual_access:  read_only
        .address_space:  global
        .offset:         24
        .size:           8
        .value_kind:     global_buffer
      - .address_space:  global
        .offset:         32
        .size:           8
        .value_kind:     global_buffer
      - .offset:         40
        .size:           4
        .value_kind:     by_value
      - .offset:         44
        .size:           4
        .value_kind:     by_value
      - .offset:         48
        .size:           4
        .value_kind:     by_value
      - .offset:         52
        .size:           4
        .value_kind:     by_value
      - .offset:         56
        .size:           1
        .value_kind:     by_value
      - .actual_access:  read_only
        .address_space:  global
        .offset:         64
        .size:           8
        .value_kind:     global_buffer
    .group_segment_fixed_size: 2048
    .kernarg_segment_align: 8
    .kernarg_segment_size: 72
    .language:       OpenCL C
    .language_version:
      - 2
      - 0
    .max_flat_workgroup_size: 1024
    .name:           _ZN4vllm4gptq33gemm_half_q_half_gptq_2bit_kernelILb1ELi8EEEvPK6__halfPKjS6_S4_PS2_iiiibPKi
    .private_segment_fixed_size: 0
    .sgpr_count:     26
    .sgpr_spill_count: 0
    .symbol:         _ZN4vllm4gptq33gemm_half_q_half_gptq_2bit_kernelILb1ELi8EEEvPK6__halfPKjS6_S4_PS2_iiiibPKi.kd
    .uniform_work_group_size: 1
    .uses_dynamic_stack: false
    .vgpr_count:     100
    .vgpr_spill_count: 0
    .wavefront_size: 32
    .workgroup_processor_mode: 1
  - .args:
      - .actual_access:  read_only
        .address_space:  global
        .offset:         0
        .size:           8
        .value_kind:     global_buffer
      - .actual_access:  read_only
        .address_space:  global
        .offset:         8
        .size:           8
        .value_kind:     global_buffer
      - .actual_access:  read_only
        .address_space:  global
        .offset:         16
        .size:           8
        .value_kind:     global_buffer
      - .actual_access:  read_only
        .address_space:  global
        .offset:         24
        .size:           8
        .value_kind:     global_buffer
      - .address_space:  global
        .offset:         32
        .size:           8
        .value_kind:     global_buffer
      - .offset:         40
        .size:           4
        .value_kind:     by_value
      - .offset:         44
        .size:           4
        .value_kind:     by_value
      - .offset:         48
        .size:           4
        .value_kind:     by_value
      - .offset:         52
        .size:           4
        .value_kind:     by_value
      - .offset:         56
        .size:           1
        .value_kind:     by_value
      - .actual_access:  read_only
        .address_space:  global
        .offset:         64
        .size:           8
        .value_kind:     global_buffer
    .group_segment_fixed_size: 2048
    .kernarg_segment_align: 8
    .kernarg_segment_size: 72
    .language:       OpenCL C
    .language_version:
      - 2
      - 0
    .max_flat_workgroup_size: 1024
    .name:           _ZN4vllm4gptq33gemm_half_q_half_gptq_3bit_kernelILb1ELi8EEEvPK6__halfPKjS6_S4_PS2_iiiibPKi
    .private_segment_fixed_size: 24
    .sgpr_count:     42
    .sgpr_spill_count: 0
    .symbol:         _ZN4vllm4gptq33gemm_half_q_half_gptq_3bit_kernelILb1ELi8EEEvPK6__halfPKjS6_S4_PS2_iiiibPKi.kd
    .uniform_work_group_size: 1
    .uses_dynamic_stack: false
    .vgpr_count:     128
    .vgpr_spill_count: 5
    .wavefront_size: 32
    .workgroup_processor_mode: 1
  - .args:
      - .actual_access:  read_only
        .address_space:  global
        .offset:         0
        .size:           8
        .value_kind:     global_buffer
      - .actual_access:  read_only
        .address_space:  global
        .offset:         8
        .size:           8
        .value_kind:     global_buffer
      - .actual_access:  read_only
        .address_space:  global
        .offset:         16
        .size:           8
        .value_kind:     global_buffer
      - .actual_access:  read_only
        .address_space:  global
        .offset:         24
        .size:           8
        .value_kind:     global_buffer
      - .address_space:  global
        .offset:         32
        .size:           8
        .value_kind:     global_buffer
      - .offset:         40
        .size:           4
        .value_kind:     by_value
      - .offset:         44
        .size:           4
        .value_kind:     by_value
      - .offset:         48
        .size:           4
        .value_kind:     by_value
      - .offset:         52
        .size:           4
        .value_kind:     by_value
      - .offset:         56
        .size:           1
        .value_kind:     by_value
      - .actual_access:  read_only
        .address_space:  global
        .offset:         64
        .size:           8
        .value_kind:     global_buffer
    .group_segment_fixed_size: 2048
    .kernarg_segment_align: 8
    .kernarg_segment_size: 72
    .language:       OpenCL C
    .language_version:
      - 2
      - 0
    .max_flat_workgroup_size: 1024
    .name:           _ZN4vllm4gptq33gemm_half_q_half_gptq_4bit_kernelILb1ELi8EEEvPK6__halfPKjS6_S4_PS2_iiiibPKi
    .private_segment_fixed_size: 0
    .sgpr_count:     26
    .sgpr_spill_count: 0
    .symbol:         _ZN4vllm4gptq33gemm_half_q_half_gptq_4bit_kernelILb1ELi8EEEvPK6__halfPKjS6_S4_PS2_iiiibPKi.kd
    .uniform_work_group_size: 1
    .uses_dynamic_stack: false
    .vgpr_count:     76
    .vgpr_spill_count: 0
    .wavefront_size: 32
    .workgroup_processor_mode: 1
  - .args:
      - .actual_access:  read_only
        .address_space:  global
        .offset:         0
        .size:           8
        .value_kind:     global_buffer
      - .actual_access:  read_only
        .address_space:  global
        .offset:         8
        .size:           8
        .value_kind:     global_buffer
      - .actual_access:  read_only
        .address_space:  global
        .offset:         16
        .size:           8
        .value_kind:     global_buffer
      - .actual_access:  read_only
        .address_space:  global
        .offset:         24
        .size:           8
        .value_kind:     global_buffer
      - .address_space:  global
        .offset:         32
        .size:           8
        .value_kind:     global_buffer
      - .offset:         40
        .size:           4
        .value_kind:     by_value
      - .offset:         44
        .size:           4
        .value_kind:     by_value
      - .offset:         48
        .size:           4
        .value_kind:     by_value
      - .offset:         52
        .size:           4
        .value_kind:     by_value
      - .offset:         56
        .size:           1
        .value_kind:     by_value
      - .actual_access:  read_only
        .address_space:  global
        .offset:         64
        .size:           8
        .value_kind:     global_buffer
    .group_segment_fixed_size: 2048
    .kernarg_segment_align: 8
    .kernarg_segment_size: 72
    .language:       OpenCL C
    .language_version:
      - 2
      - 0
    .max_flat_workgroup_size: 1024
    .name:           _ZN4vllm4gptq33gemm_half_q_half_gptq_8bit_kernelILb1ELi8EEEvPK6__halfPKjS6_S4_PS2_iiiibPKi
    .private_segment_fixed_size: 0
    .sgpr_count:     26
    .sgpr_spill_count: 0
    .symbol:         _ZN4vllm4gptq33gemm_half_q_half_gptq_8bit_kernelILb1ELi8EEEvPK6__halfPKjS6_S4_PS2_iiiibPKi.kd
    .uniform_work_group_size: 1
    .uses_dynamic_stack: false
    .vgpr_count:     106
    .vgpr_spill_count: 0
    .wavefront_size: 32
    .workgroup_processor_mode: 1
  - .args:
      - .actual_access:  read_only
        .address_space:  global
        .offset:         0
        .size:           8
        .value_kind:     global_buffer
      - .actual_access:  read_only
        .address_space:  global
        .offset:         8
        .size:           8
        .value_kind:     global_buffer
      - .actual_access:  read_only
        .address_space:  global
        .offset:         16
        .size:           8
        .value_kind:     global_buffer
      - .actual_access:  read_only
        .address_space:  global
        .offset:         24
        .size:           8
        .value_kind:     global_buffer
      - .offset:         32
        .size:           4
        .value_kind:     by_value
      - .offset:         36
        .size:           4
        .value_kind:     by_value
      - .offset:         40
        .size:           4
        .value_kind:     by_value
      - .offset:         44
        .size:           1
        .value_kind:     by_value
      - .actual_access:  write_only
        .address_space:  global
        .offset:         48
        .size:           8
        .value_kind:     global_buffer
    .group_segment_fixed_size: 0
    .kernarg_segment_align: 8
    .kernarg_segment_size: 56
    .language:       OpenCL C
    .language_version:
      - 2
      - 0
    .max_flat_workgroup_size: 1024
    .name:           _ZN4vllm4gptq23reconstruct_gptq_kernelINS0_17MatrixView_q4_rowELi4EEEvPKjPK6__halfS4_PKiiiibPS5_
    .private_segment_fixed_size: 0
    .sgpr_count:     26
    .sgpr_spill_count: 0
    .symbol:         _ZN4vllm4gptq23reconstruct_gptq_kernelINS0_17MatrixView_q4_rowELi4EEEvPKjPK6__halfS4_PKiiiibPS5_.kd
    .uniform_work_group_size: 1
    .uses_dynamic_stack: false
    .vgpr_count:     42
    .vgpr_spill_count: 0
    .wavefront_size: 32
    .workgroup_processor_mode: 1
  - .args:
      - .actual_access:  read_only
        .address_space:  global
        .offset:         0
        .size:           8
        .value_kind:     global_buffer
      - .actual_access:  read_only
        .address_space:  global
        .offset:         8
        .size:           8
        .value_kind:     global_buffer
      - .actual_access:  read_only
        .address_space:  global
        .offset:         16
        .size:           8
        .value_kind:     global_buffer
      - .actual_access:  read_only
        .address_space:  global
        .offset:         24
        .size:           8
        .value_kind:     global_buffer
      - .offset:         32
        .size:           4
        .value_kind:     by_value
      - .offset:         36
        .size:           4
        .value_kind:     by_value
      - .offset:         40
        .size:           4
        .value_kind:     by_value
      - .offset:         44
        .size:           1
        .value_kind:     by_value
      - .actual_access:  write_only
        .address_space:  global
        .offset:         48
        .size:           8
        .value_kind:     global_buffer
    .group_segment_fixed_size: 0
    .kernarg_segment_align: 8
    .kernarg_segment_size: 56
    .language:       OpenCL C
    .language_version:
      - 2
      - 0
    .max_flat_workgroup_size: 1024
    .name:           _ZN4vllm4gptq23reconstruct_gptq_kernelINS0_17MatrixView_q2_rowELi2EEEvPKjPK6__halfS4_PKiiiibPS5_
    .private_segment_fixed_size: 0
    .sgpr_count:     34
    .sgpr_spill_count: 0
    .symbol:         _ZN4vllm4gptq23reconstruct_gptq_kernelINS0_17MatrixView_q2_rowELi2EEEvPKjPK6__halfS4_PKiiiibPS5_.kd
    .uniform_work_group_size: 1
    .uses_dynamic_stack: false
    .vgpr_count:     50
    .vgpr_spill_count: 0
    .wavefront_size: 32
    .workgroup_processor_mode: 1
  - .args:
      - .actual_access:  read_only
        .address_space:  global
        .offset:         0
        .size:           8
        .value_kind:     global_buffer
      - .actual_access:  read_only
        .address_space:  global
        .offset:         8
        .size:           8
        .value_kind:     global_buffer
      - .actual_access:  read_only
        .address_space:  global
        .offset:         16
        .size:           8
        .value_kind:     global_buffer
      - .actual_access:  read_only
        .address_space:  global
        .offset:         24
        .size:           8
        .value_kind:     global_buffer
      - .offset:         32
        .size:           4
        .value_kind:     by_value
      - .offset:         36
        .size:           4
        .value_kind:     by_value
      - .offset:         40
        .size:           4
        .value_kind:     by_value
      - .offset:         44
        .size:           1
        .value_kind:     by_value
      - .actual_access:  write_only
        .address_space:  global
        .offset:         48
        .size:           8
        .value_kind:     global_buffer
    .group_segment_fixed_size: 0
    .kernarg_segment_align: 8
    .kernarg_segment_size: 56
    .language:       OpenCL C
    .language_version:
      - 2
      - 0
    .max_flat_workgroup_size: 1024
    .name:           _ZN4vllm4gptq23reconstruct_gptq_kernelINS0_17MatrixView_q8_rowELi8EEEvPKjPK6__halfS4_PKiiiibPS5_
    .private_segment_fixed_size: 0
    .sgpr_count:     20
    .sgpr_spill_count: 0
    .symbol:         _ZN4vllm4gptq23reconstruct_gptq_kernelINS0_17MatrixView_q8_rowELi8EEEvPKjPK6__halfS4_PKiiiibPS5_.kd
    .uniform_work_group_size: 1
    .uses_dynamic_stack: false
    .vgpr_count:     21
    .vgpr_spill_count: 0
    .wavefront_size: 32
    .workgroup_processor_mode: 1
amdhsa.target:   amdgcn-amd-amdhsa--gfx1030
amdhsa.version:
  - 1
  - 2
...

	.end_amdgpu_metadata
